;; amdgpu-corpus repo=ROCm/rocFFT kind=compiled arch=gfx1201 opt=O3
	.text
	.amdgcn_target "amdgcn-amd-amdhsa--gfx1201"
	.amdhsa_code_object_version 6
	.protected	bluestein_single_fwd_len1105_dim1_half_op_CI_CI ; -- Begin function bluestein_single_fwd_len1105_dim1_half_op_CI_CI
	.globl	bluestein_single_fwd_len1105_dim1_half_op_CI_CI
	.p2align	8
	.type	bluestein_single_fwd_len1105_dim1_half_op_CI_CI,@function
bluestein_single_fwd_len1105_dim1_half_op_CI_CI: ; @bluestein_single_fwd_len1105_dim1_half_op_CI_CI
; %bb.0:
	s_load_b128 s[8:11], s[0:1], 0x28
	v_mul_u32_u24_e32 v1, 0x304, v0
	s_mov_b32 s2, exec_lo
	s_delay_alu instid0(VALU_DEP_1) | instskip(NEXT) | instid1(VALU_DEP_1)
	v_lshrrev_b32_e32 v1, 16, v1
	v_mad_co_u64_u32 v[24:25], null, ttmp9, 3, v[1:2]
	v_mov_b32_e32 v25, 0
	s_wait_kmcnt 0x0
	s_delay_alu instid0(VALU_DEP_1)
	v_cmpx_gt_u64_e64 s[8:9], v[24:25]
	s_cbranch_execz .LBB0_23
; %bb.1:
	v_mul_hi_u32 v2, 0xaaaaaaab, v24
	s_clause 0x1
	s_load_b64 s[8:9], s[0:1], 0x0
	s_load_b64 s[12:13], s[0:1], 0x38
	v_mul_lo_u16 v1, 0x55, v1
	s_delay_alu instid0(VALU_DEP_1) | instskip(NEXT) | instid1(VALU_DEP_3)
	v_sub_nc_u16 v0, v0, v1
	v_lshrrev_b32_e32 v2, 1, v2
	s_delay_alu instid0(VALU_DEP_2) | instskip(NEXT) | instid1(VALU_DEP_2)
	v_and_b32_e32 v44, 0xffff, v0
	v_lshl_add_u32 v2, v2, 1, v2
	v_cmp_gt_u16_e32 vcc_lo, 0x41, v0
	s_delay_alu instid0(VALU_DEP_3) | instskip(NEXT) | instid1(VALU_DEP_3)
	v_lshlrev_b32_e32 v43, 2, v44
	v_sub_nc_u32_e32 v1, v24, v2
	s_delay_alu instid0(VALU_DEP_1) | instskip(NEXT) | instid1(VALU_DEP_1)
	v_mul_u32_u24_e32 v45, 0x451, v1
	v_lshlrev_b32_e32 v46, 2, v45
	s_and_saveexec_b32 s3, vcc_lo
	s_cbranch_execz .LBB0_3
; %bb.2:
	s_load_b64 s[4:5], s[0:1], 0x18
	s_wait_kmcnt 0x0
	s_load_b128 s[4:7], s[4:5], 0x0
	s_wait_kmcnt 0x0
	v_mad_co_u64_u32 v[0:1], null, s6, v24, 0
	v_mad_co_u64_u32 v[2:3], null, s4, v44, 0
	s_delay_alu instid0(VALU_DEP_1) | instskip(NEXT) | instid1(VALU_DEP_1)
	v_mad_co_u64_u32 v[4:5], null, s7, v24, v[1:2]
	v_mad_co_u64_u32 v[5:6], null, s5, v44, v[3:4]
	v_mov_b32_e32 v1, v4
	s_mul_u64 s[4:5], s[4:5], 0x104
	s_delay_alu instid0(VALU_DEP_1) | instskip(NEXT) | instid1(VALU_DEP_3)
	v_lshlrev_b64_e32 v[0:1], 2, v[0:1]
	v_mov_b32_e32 v3, v5
	s_clause 0xe
	global_load_b32 v4, v43, s[8:9]
	global_load_b32 v5, v43, s[8:9] offset:260
	global_load_b32 v6, v43, s[8:9] offset:520
	;; [unrolled: 1-line block ×14, first 2 shown]
	v_lshlrev_b64_e32 v[2:3], 2, v[2:3]
	v_add_co_u32 v0, s2, s10, v0
	s_delay_alu instid0(VALU_DEP_1) | instskip(NEXT) | instid1(VALU_DEP_2)
	v_add_co_ci_u32_e64 v1, s2, s11, v1, s2
	v_add_co_u32 v0, s2, v0, v2
	s_wait_alu 0xf1ff
	s_delay_alu instid0(VALU_DEP_2) | instskip(SKIP_1) | instid1(VALU_DEP_2)
	v_add_co_ci_u32_e64 v1, s2, v1, v3, s2
	s_wait_alu 0xfffe
	v_add_co_u32 v2, s2, v0, s4
	s_wait_alu 0xf1ff
	s_delay_alu instid0(VALU_DEP_2)
	v_add_co_ci_u32_e64 v3, s2, s5, v1, s2
	global_load_b32 v19, v[0:1], off
	v_add_co_u32 v0, s2, v2, s4
	s_wait_alu 0xf1ff
	v_add_co_ci_u32_e64 v1, s2, s5, v3, s2
	global_load_b32 v20, v43, s[8:9] offset:3900
	global_load_b32 v21, v[2:3], off
	global_load_b32 v22, v43, s[8:9] offset:4160
	global_load_b32 v23, v[0:1], off
	v_add_co_u32 v0, s2, v0, s4
	s_wait_alu 0xf1ff
	v_add_co_ci_u32_e64 v1, s2, s5, v1, s2
	s_delay_alu instid0(VALU_DEP_2) | instskip(SKIP_1) | instid1(VALU_DEP_2)
	v_add_co_u32 v2, s2, v0, s4
	s_wait_alu 0xf1ff
	v_add_co_ci_u32_e64 v3, s2, s5, v1, s2
	s_clause 0x1
	global_load_b32 v25, v[0:1], off
	global_load_b32 v26, v[2:3], off
	v_add_co_u32 v0, s2, v2, s4
	s_wait_alu 0xf1ff
	v_add_co_ci_u32_e64 v1, s2, s5, v3, s2
	s_delay_alu instid0(VALU_DEP_2) | instskip(SKIP_1) | instid1(VALU_DEP_2)
	v_add_co_u32 v2, s2, v0, s4
	s_wait_alu 0xf1ff
	v_add_co_ci_u32_e64 v3, s2, s5, v1, s2
	global_load_b32 v27, v[0:1], off
	v_add_co_u32 v0, s2, v2, s4
	s_wait_alu 0xf1ff
	v_add_co_ci_u32_e64 v1, s2, s5, v3, s2
	global_load_b32 v28, v[2:3], off
	global_load_b32 v29, v[0:1], off
	v_add_co_u32 v0, s2, v0, s4
	s_wait_alu 0xf1ff
	v_add_co_ci_u32_e64 v1, s2, s5, v1, s2
	s_delay_alu instid0(VALU_DEP_2) | instskip(SKIP_1) | instid1(VALU_DEP_2)
	v_add_co_u32 v2, s2, v0, s4
	s_wait_alu 0xf1ff
	v_add_co_ci_u32_e64 v3, s2, s5, v1, s2
	global_load_b32 v30, v[0:1], off
	v_add_co_u32 v0, s2, v2, s4
	s_wait_alu 0xf1ff
	v_add_co_ci_u32_e64 v1, s2, s5, v3, s2
	;; [unrolled: 13-line block ×3, first 2 shown]
	global_load_b32 v34, v[2:3], off
	v_add_co_u32 v2, s2, v0, s4
	s_wait_alu 0xf1ff
	v_add_co_ci_u32_e64 v3, s2, s5, v1, s2
	global_load_b32 v35, v[0:1], off
	v_add_co_u32 v0, s2, v2, s4
	s_wait_alu 0xf1ff
	v_add_co_ci_u32_e64 v1, s2, s5, v3, s2
	;; [unrolled: 4-line block ×3, first 2 shown]
	global_load_b32 v0, v[0:1], off
	global_load_b32 v1, v[2:3], off
	v_lshl_add_u32 v3, v44, 2, v46
	v_add_nc_u32_e32 v2, v46, v43
	s_delay_alu instid0(VALU_DEP_1)
	v_add_nc_u32_e32 v38, 0x400, v2
	v_add_nc_u32_e32 v37, 0x200, v2
	;; [unrolled: 1-line block ×6, first 2 shown]
	s_wait_loadcnt 0x21
	v_lshrrev_b32_e32 v47, 16, v4
	s_wait_loadcnt 0x20
	v_lshrrev_b32_e32 v48, 16, v5
	;; [unrolled: 2-line block ×16, first 2 shown]
	v_mul_f16_e32 v63, v47, v19
	s_wait_loadcnt 0x11
	v_lshrrev_b32_e32 v64, 16, v20
	s_wait_loadcnt 0x10
	v_lshrrev_b32_e32 v65, 16, v21
	;; [unrolled: 2-line block ×3, first 2 shown]
	v_mul_f16_e32 v47, v47, v60
	v_fma_f16 v60, v4, v60, -v63
	v_mul_f16_e32 v63, v48, v21
	s_delay_alu instid0(VALU_DEP_3)
	v_fmac_f16_e32 v47, v4, v19
	v_mul_f16_e32 v4, v48, v65
	s_wait_loadcnt 0xe
	v_lshrrev_b32_e32 v19, 16, v23
	v_mul_f16_e32 v48, v49, v23
	v_fma_f16 v63, v5, v65, -v63
	v_pack_b32_f16 v47, v47, v60
	v_fmac_f16_e32 v4, v5, v21
	v_mul_f16_e32 v5, v49, v19
	s_wait_loadcnt 0xd
	v_lshrrev_b32_e32 v21, 16, v25
	v_fma_f16 v19, v6, v19, -v48
	v_mul_f16_e32 v48, v50, v25
	ds_store_b32 v3, v47
	v_pack_b32_f16 v3, v4, v63
	v_fmac_f16_e32 v5, v6, v23
	v_mul_f16_e32 v4, v50, v21
	s_wait_loadcnt 0xc
	v_lshrrev_b32_e32 v6, 16, v26
	v_mul_f16_e32 v23, v51, v26
	v_fma_f16 v21, v7, v21, -v48
	v_pack_b32_f16 v5, v5, v19
	v_fmac_f16_e32 v4, v7, v25
	v_mul_f16_e32 v7, v51, v6
	s_wait_loadcnt 0xb
	v_lshrrev_b32_e32 v19, 16, v27
	v_fma_f16 v6, v8, v6, -v23
	v_mul_f16_e32 v23, v52, v27
	ds_store_2addr_b32 v2, v3, v5 offset0:65 offset1:130
	v_pack_b32_f16 v3, v4, v21
	v_fmac_f16_e32 v7, v8, v26
	v_mul_f16_e32 v4, v52, v19
	s_wait_loadcnt 0xa
	v_lshrrev_b32_e32 v5, 16, v28
	v_mul_f16_e32 v8, v53, v28
	v_fma_f16 v19, v9, v19, -v23
	v_pack_b32_f16 v6, v7, v6
	v_fmac_f16_e32 v4, v9, v27
	v_mul_f16_e32 v7, v53, v5
	v_fma_f16 v5, v10, v5, -v8
	s_wait_loadcnt 0x9
	v_lshrrev_b32_e32 v8, 16, v29
	v_mul_f16_e32 v9, v54, v29
	ds_store_2addr_b32 v37, v3, v6 offset0:67 offset1:132
	v_pack_b32_f16 v3, v4, v19
	v_fmac_f16_e32 v7, v10, v28
	v_mul_f16_e32 v4, v54, v8
	s_wait_loadcnt 0x8
	v_lshrrev_b32_e32 v6, 16, v30
	v_mul_f16_e32 v10, v55, v30
	v_fma_f16 v8, v11, v8, -v9
	v_pack_b32_f16 v5, v7, v5
	v_fmac_f16_e32 v4, v11, v29
	v_mul_f16_e32 v7, v55, v6
	s_wait_loadcnt 0x7
	v_lshrrev_b32_e32 v9, 16, v31
	v_fma_f16 v6, v12, v6, -v10
	v_mul_f16_e32 v10, v56, v31
	ds_store_2addr_b32 v38, v3, v5 offset0:69 offset1:134
	v_pack_b32_f16 v3, v4, v8
	v_fmac_f16_e32 v7, v12, v30
	v_mul_f16_e32 v4, v56, v9
	s_wait_loadcnt 0x6
	v_lshrrev_b32_e32 v5, 16, v32
	v_fma_f16 v8, v13, v9, -v10
	v_mul_f16_e32 v9, v57, v32
	v_pack_b32_f16 v6, v7, v6
	v_fmac_f16_e32 v4, v13, v31
	v_mul_f16_e32 v7, v57, v5
	s_wait_loadcnt 0x5
	v_lshrrev_b32_e32 v10, 16, v33
	v_mul_f16_e32 v11, v58, v33
	v_fma_f16 v5, v14, v5, -v9
	v_pack_b32_f16 v4, v4, v8
	v_fmac_f16_e32 v7, v14, v32
	v_mul_f16_e32 v8, v58, v10
	v_fma_f16 v9, v15, v10, -v11
	s_wait_loadcnt 0x4
	v_lshrrev_b32_e32 v10, 16, v34
	v_mul_f16_e32 v11, v59, v34
	v_pack_b32_f16 v5, v7, v5
	v_fmac_f16_e32 v8, v15, v33
	s_wait_loadcnt 0x3
	v_lshrrev_b32_e32 v7, 16, v35
	v_mul_f16_e32 v12, v59, v10
	v_fma_f16 v10, v16, v10, -v11
	v_mul_f16_e32 v11, v61, v35
	s_wait_loadcnt 0x2
	v_lshrrev_b32_e32 v13, 16, v36
	v_pack_b32_f16 v8, v8, v9
	v_mul_f16_e32 v9, v61, v7
	v_fmac_f16_e32 v12, v16, v34
	v_fma_f16 v7, v17, v7, -v11
	v_mul_f16_e32 v11, v62, v36
	s_wait_loadcnt 0x1
	v_lshrrev_b32_e32 v14, 16, v0
	s_wait_loadcnt 0x0
	v_lshrrev_b32_e32 v16, 16, v1
	v_mul_f16_e32 v15, v62, v13
	v_fmac_f16_e32 v9, v17, v35
	v_fma_f16 v11, v18, v13, -v11
	v_mul_f16_e32 v13, v64, v0
	v_mul_f16_e32 v17, v64, v14
	;; [unrolled: 1-line block ×4, first 2 shown]
	v_fmac_f16_e32 v15, v18, v36
	v_fma_f16 v13, v20, v14, -v13
	v_fmac_f16_e32 v17, v20, v0
	v_fma_f16 v0, v22, v16, -v19
	v_fmac_f16_e32 v21, v22, v1
	v_pack_b32_f16 v1, v12, v10
	v_pack_b32_f16 v7, v9, v7
	;; [unrolled: 1-line block ×5, first 2 shown]
	v_add_nc_u32_e32 v2, 0xe00, v2
	ds_store_2addr_b32 v39, v3, v6 offset0:71 offset1:136
	ds_store_2addr_b32 v40, v4, v5 offset0:73 offset1:138
	;; [unrolled: 1-line block ×5, first 2 shown]
.LBB0_3:
	s_or_b32 exec_lo, exec_lo, s3
	s_clause 0x1
	s_load_b64 s[4:5], s[0:1], 0x20
	s_load_b64 s[2:3], s[0:1], 0x8
	v_mov_b32_e32 v8, 0
	global_wb scope:SCOPE_SE
	s_wait_dscnt 0x0
	s_wait_kmcnt 0x0
	s_barrier_signal -1
	s_barrier_wait -1
	global_inv scope:SCOPE_SE
                                        ; implicit-def: $vgpr16
                                        ; implicit-def: $vgpr1
                                        ; implicit-def: $vgpr3
                                        ; implicit-def: $vgpr5
                                        ; implicit-def: $vgpr7
                                        ; implicit-def: $vgpr11
                                        ; implicit-def: $vgpr13
                                        ; implicit-def: $vgpr15
                                        ; implicit-def: $vgpr39
	s_and_saveexec_b32 s0, vcc_lo
	s_cbranch_execz .LBB0_5
; %bb.4:
	v_lshl_add_u32 v16, v45, 2, v43
	s_delay_alu instid0(VALU_DEP_1)
	v_add_nc_u32_e32 v0, 0x400, v16
	v_add_nc_u32_e32 v1, 0x800, v16
	;; [unrolled: 1-line block ×3, first 2 shown]
	ds_load_2addr_b32 v[8:9], v16 offset1:65
	ds_load_2addr_b32 v[14:15], v16 offset0:130 offset1:195
	ds_load_2addr_b32 v[12:13], v0 offset0:4 offset1:69
	;; [unrolled: 1-line block ×7, first 2 shown]
	ds_load_b32 v16, v16 offset:4160
	s_wait_dscnt 0x7
	v_alignbit_b32 v39, v14, v14, 16
.LBB0_5:
	s_wait_alu 0xfffe
	s_or_b32 exec_lo, exec_lo, s0
	s_wait_dscnt 0x0
	v_pk_add_f16 v14, v9, v16 neg_lo:[0,1] neg_hi:[0,1]
	v_pk_add_f16 v18, v16, v9
	v_pk_add_f16 v19, v39, v1 op_sel:[1,0] op_sel_hi:[0,1] neg_lo:[0,1] neg_hi:[0,1]
	v_lshrrev_b32_e32 v29, 16, v8
	v_pk_add_f16 v17, v1, v39 op_sel:[1,0] op_sel_hi:[0,1]
	v_lshrrev_b32_e32 v96, 16, v14
	v_lshrrev_b32_e32 v33, 16, v18
	v_mul_f16_e32 v58, 0xb964, v14
	v_mul_f16_e32 v68, 0xbb29, v14
	v_lshrrev_b32_e32 v95, 16, v19
	v_mul_f16_e32 v55, 0xb5c8, v96
	v_mul_f16_e32 v64, 0xbb29, v96
	v_fma_f16 v20, v33, 0x39e9, -v58
	v_mul_f16_e32 v60, 0xbbf7, v19
	v_fma_f16 v21, v33, 0x3722, -v68
	v_fmamk_f16 v22, v18, 0x3b76, v55
	v_fmamk_f16 v23, v18, 0x3722, v64
	v_add_f16_e32 v20, v20, v29
	v_lshrrev_b32_e32 v31, 16, v17
	v_mul_f16_e32 v65, 0xba62, v95
	v_fma_f16 v28, v17, 0x2de8, -v60
	v_mul_f16_e32 v77, 0xbbf7, v96
	v_add_f16_e32 v25, v21, v29
	v_add_f16_e32 v21, v22, v8
	;; [unrolled: 1-line block ×3, first 2 shown]
	v_mul_f16_e32 v56, 0xb964, v95
	v_fmamk_f16 v30, v31, 0xb8d2, v65
	v_mul_f16_e32 v72, 0xba62, v19
	v_add_f16_e32 v28, v28, v20
	v_pk_add_f16 v20, v15, v0 neg_lo:[0,1] neg_hi:[0,1]
	v_fmamk_f16 v23, v18, 0x2de8, v77
	v_fmamk_f16 v27, v31, 0x39e9, v56
	v_add_f16_e32 v30, v30, v22
	v_fma_f16 v22, v17, 0xb8d2, -v72
	v_mul_f16_e32 v85, 0xb1e1, v95
	v_lshrrev_b32_e32 v105, 16, v20
	v_mul_f16_e32 v90, 0xbbf7, v14
	v_add_f16_e32 v23, v23, v8
	v_add_f16_e32 v27, v27, v21
	v_pk_add_f16 v21, v0, v15
	v_add_f16_e32 v25, v22, v25
	v_fmamk_f16 v22, v31, 0xbbdd, v85
	v_mul_f16_e32 v57, 0xbb29, v105
	v_fma_f16 v26, v33, 0x2de8, -v90
	v_mul_f16_e32 v98, 0xb1e1, v19
	v_lshrrev_b32_e32 v36, 16, v21
	v_add_f16_e32 v34, v22, v23
	v_fmamk_f16 v22, v21, 0x3722, v57
	v_add_f16_e32 v26, v26, v29
	v_fma_f16 v32, v17, 0xbbdd, -v98
	v_mul_f16_e32 v63, 0xba62, v20
	v_mul_f16_e32 v70, 0x31e1, v105
	v_add_f16_e32 v27, v22, v27
	v_pk_add_f16 v22, v12, v3 neg_lo:[0,1] neg_hi:[0,1]
	v_add_f16_e32 v26, v32, v26
	v_fma_f16 v23, v36, 0xb8d2, -v63
	v_mul_f16_e32 v76, 0x31e1, v20
	v_fmamk_f16 v32, v21, 0xbbdd, v70
	v_mul_f16_e32 v93, 0x3bb2, v105
	v_lshrrev_b32_e32 v112, 16, v22
	v_add_f16_e32 v28, v23, v28
	v_fma_f16 v35, v36, 0xbbdd, -v76
	v_add_f16_e32 v30, v32, v30
	v_pk_add_f16 v23, v3, v12
	v_mul_f16_e32 v107, 0x3bb2, v20
	v_fmamk_f16 v32, v21, 0xb461, v93
	v_mul_f16_e32 v59, 0xbbf7, v112
	v_add_f16_e32 v25, v35, v25
	v_lshrrev_b32_e32 v38, 16, v23
	v_mul_f16_e32 v67, 0xb1e1, v22
	v_fma_f16 v35, v36, 0xb461, -v107
	v_mul_f16_e32 v73, 0x3bb2, v112
	v_add_f16_e32 v32, v32, v34
	v_fmamk_f16 v34, v23, 0x2de8, v59
	v_fma_f16 v37, v38, 0xbbdd, -v67
	v_add_f16_e32 v26, v35, v26
	v_fmamk_f16 v35, v23, 0xb461, v73
	v_mul_f16_e32 v80, 0x3bb2, v22
	v_add_f16_e32 v34, v34, v27
	v_pk_add_f16 v27, v13, v2 neg_lo:[0,1] neg_hi:[0,1]
	v_add_f16_e32 v28, v37, v28
	v_add_f16_e32 v35, v35, v30
	v_fma_f16 v37, v38, 0xb461, -v80
	v_mul_f16_e32 v99, 0x35c8, v112
	v_mul_f16_e32 v117, 0x35c8, v22
	v_lshrrev_b32_e32 v118, 16, v27
	v_pk_add_f16 v30, v2, v13
	v_add_f16_e32 v25, v37, v25
	v_fmamk_f16 v37, v23, 0x3b76, v99
	v_fma_f16 v41, v38, 0x3b76, -v117
	v_mul_f16_e32 v61, 0xbbb2, v118
	v_lshrrev_b32_e32 v40, 16, v30
	v_mul_f16_e32 v71, 0x3836, v27
	v_mul_f16_e32 v75, 0x3964, v118
	v_add_f16_e32 v37, v37, v32
	v_add_f16_e32 v26, v41, v26
	v_fmamk_f16 v41, v30, 0xb461, v61
	v_fma_f16 v42, v40, 0xbacd, -v71
	v_fmamk_f16 v47, v30, 0x39e9, v75
	v_mul_f16_e32 v87, 0x3964, v27
	v_pk_add_f16 v32, v10, v5 neg_lo:[0,1] neg_hi:[0,1]
	v_add_f16_e32 v41, v41, v34
	v_add_f16_e32 v28, v42, v28
	;; [unrolled: 1-line block ×3, first 2 shown]
	v_fma_f16 v35, v40, 0x39e9, -v87
	v_lshrrev_b32_e32 v123, 16, v32
	v_mul_f16_e32 v106, 0xbb29, v118
	v_mul_f16_e32 v120, 0xbb29, v27
	v_pk_add_f16 v34, v5, v10
	v_add_f16_e32 v25, v35, v25
	v_mul_f16_e32 v74, 0x3bb2, v32
	v_fmamk_f16 v35, v30, 0x3722, v106
	v_fma_f16 v47, v40, 0x3722, -v120
	v_lshrrev_b32_e32 v52, 16, v34
	v_mul_f16_e32 v81, 0xb5c8, v123
	v_mul_f16_e32 v66, 0xba62, v123
	v_add_f16_e32 v49, v35, v37
	v_add_f16_e32 v26, v47, v26
	v_fma_f16 v37, v52, 0xb461, -v74
	v_fmamk_f16 v47, v34, 0x3b76, v81
	v_pk_add_f16 v35, v11, v4 neg_lo:[0,1] neg_hi:[0,1]
	v_mul_f16_e32 v97, 0xb5c8, v32
	v_fmamk_f16 v48, v34, 0xb8d2, v66
	v_add_f16_e32 v28, v37, v28
	v_mul_f16_e32 v116, 0xb836, v123
	v_add_f16_e32 v42, v47, v42
	v_lshrrev_b32_e32 v126, 16, v35
	v_pk_add_f16 v37, v4, v11
	v_fma_f16 v47, v52, 0x3b76, -v97
	v_mul_f16_e32 v125, 0xb836, v32
	v_add_f16_e32 v41, v48, v41
	v_fmamk_f16 v48, v34, 0xbacd, v116
	v_mul_f16_e32 v69, 0xb836, v126
	v_lshrrev_b32_e32 v54, 16, v37
	v_mul_f16_e32 v78, 0x3b29, v35
	v_add_f16_e32 v25, v47, v25
	v_fma_f16 v47, v52, 0xbacd, -v125
	v_fmamk_f16 v50, v37, 0xbacd, v69
	v_add_f16_e32 v48, v48, v49
	v_fma_f16 v49, v54, 0x3722, -v78
	v_mul_f16_e32 v91, 0xbbf7, v126
	v_add_f16_e32 v26, v47, v26
	v_pk_mul_f16 v47, 0x3b7639e9, v18
	v_add_f16_e32 v41, v50, v41
	v_add_f16_e32 v28, v49, v28
	v_fmamk_f16 v49, v37, 0x2de8, v91
	v_mul_f16_e32 v104, 0xbbf7, v35
	v_mul_f16_e32 v119, 0x3a62, v126
	v_pk_fma_f16 v79, 0xb964b5c8, v14, v47 op_sel:[0,0,1] op_sel_hi:[1,1,0]
	v_pk_mul_f16 v50, 0xbbf7b964, v19
	v_add_f16_e32 v42, v49, v42
	v_fma_f16 v49, v54, 0x2de8, -v104
	v_fmamk_f16 v51, v37, 0xb8d2, v119
	v_lshrrev_b32_e32 v53, 16, v79
	v_pk_fma_f16 v86, 0x2de839e9, v17, v50
	v_pk_mul_f16 v62, 0x3722b8d2, v21
	v_add_f16_e32 v83, v49, v25
	v_add_f16_e32 v84, v51, v48
	;; [unrolled: 1-line block ×3, first 2 shown]
	v_lshrrev_b32_e32 v49, 16, v86
	v_pk_fma_f16 v88, 0xba62bb29, v20, v62 op_sel:[0,0,1] op_sel_hi:[1,1,0]
	v_pk_mul_f16 v51, 0x2de8bbdd, v23
	v_pk_add_f16 v48, v6, v7 neg_lo:[0,1] neg_hi:[0,1]
	v_mul_f16_e64 v153, 0x3a62, v35
	v_add_f16_e32 v25, v49, v25
	v_lshrrev_b32_e32 v49, 16, v88
	v_pk_fma_f16 v89, 0xb1e1bbf7, v22, v51 op_sel:[0,0,1] op_sel_hi:[1,1,0]
	v_pk_mul_f16 v109, 0xb461bacd, v30
	v_lshrrev_b32_e32 v155, 16, v48
	v_fma_f16 v100, v54, 0xb8d2, -v153
	v_add_f16_e32 v25, v49, v25
	v_lshrrev_b32_e32 v49, 16, v89
	v_pk_fma_f16 v92, 0x3836bbb2, v27, v109 op_sel:[0,0,1] op_sel_hi:[1,1,0]
	v_pk_add_f16 v53, v7, v6
	v_mul_f16_e64 v82, 0xb1e1, v155
	v_pk_fma_f16 v101, 0xb964b5c8, v14, v47 op_sel:[0,0,1] op_sel_hi:[1,1,0] neg_lo:[0,1,0] neg_hi:[0,1,0]
	v_add_f16_e32 v25, v49, v25
	v_lshrrev_b32_e32 v49, 16, v92
	v_add_f16_e32 v26, v100, v26
	v_fmamk_f16 v100, v53, 0xbbdd, v82
	v_pk_fma_f16 v102, 0x2de839e9, v17, v50 neg_lo:[0,0,1] neg_hi:[0,0,1]
	v_add_f16_e32 v50, v101, v29
	v_add_f16_e32 v25, v49, v25
	v_pk_fma_f16 v103, 0xba62bb29, v20, v62 op_sel:[0,0,1] op_sel_hi:[1,1,0] neg_lo:[0,1,0] neg_hi:[0,1,0]
	v_add_f16_e32 v49, v100, v41
	v_pk_mul_f16 v111, 0xb8d2b461, v34
	v_add_f16_e32 v41, v102, v50
	v_lshrrev_b32_e32 v62, 16, v53
	v_mul_f16_e32 v115, 0x35c8, v48
	v_pk_fma_f16 v108, 0xb1e1bbf7, v22, v51 op_sel:[0,0,1] op_sel_hi:[1,1,0] neg_lo:[0,1,0] neg_hi:[0,1,0]
	v_pk_fma_f16 v94, 0x3bb2ba62, v32, v111 op_sel:[0,0,1] op_sel_hi:[1,1,0]
	v_add_f16_e32 v41, v103, v41
	v_pk_mul_f16 v113, 0xbacd3722, v37
	v_fma_f16 v50, v62, 0x3b76, -v115
	v_pk_fma_f16 v110, 0x3836bbb2, v27, v109 op_sel:[0,0,1] op_sel_hi:[1,1,0] neg_lo:[0,1,0] neg_hi:[0,1,0]
	v_lshrrev_b32_e32 v47, 16, v94
	v_add_f16_e32 v41, v108, v41
	v_pk_fma_f16 v100, 0x3b29b836, v35, v113 op_sel:[0,0,1] op_sel_hi:[1,1,0]
	v_mul_f16_e64 v121, 0xb836, v155
	v_add_f16_e32 v50, v50, v28
	v_pk_fma_f16 v111, 0x3bb2ba62, v32, v111 op_sel:[0,0,1] op_sel_hi:[1,1,0] neg_lo:[0,1,0] neg_hi:[0,1,0]
	v_add_f16_e32 v28, v110, v41
	v_pk_mul_f16 v41, 0xbbdd3b76, v53
	v_add_f16_e32 v25, v47, v25
	v_lshrrev_b32_e32 v47, 16, v100
	v_fmamk_f16 v51, v53, 0xbacd, v121
	v_mul_f16_e32 v124, 0xb836, v48
	v_mul_f16_e64 v161, 0x3964, v48
	v_pk_fma_f16 v114, 0x3b29b836, v35, v113 op_sel:[0,0,1] op_sel_hi:[1,1,0] neg_lo:[0,1,0] neg_hi:[0,1,0]
	v_add_f16_e32 v28, v111, v28
	v_pk_fma_f16 v109, 0x35c8b1e1, v48, v41 op_sel:[0,0,1] op_sel_hi:[1,1,0]
	v_mul_f16_e64 v147, 0x3964, v155
	v_add_f16_e32 v47, v47, v25
	v_add_f16_e32 v25, v51, v42
	v_fma_f16 v42, v62, 0xbacd, -v124
	v_fma_f16 v51, v62, 0x39e9, -v161
	v_add_f16_e32 v28, v114, v28
	v_pk_fma_f16 v113, 0x35c8b1e1, v48, v41 op_sel:[0,0,1] op_sel_hi:[1,1,0] neg_lo:[0,1,0] neg_hi:[0,1,0]
	v_lshrrev_b32_e32 v122, 16, v109
	v_fma_f16 v127, 0x39e9, v53, v147
	v_add_f16_e32 v41, v42, v83
	v_add_f16_e32 v42, v51, v26
	;; [unrolled: 1-line block ×5, first 2 shown]
	v_mul_lo_u16 v47, v44, 17
	global_wb scope:SCOPE_SE
	s_barrier_signal -1
	s_barrier_wait -1
	global_inv scope:SCOPE_SE
	s_and_saveexec_b32 s0, vcc_lo
	s_cbranch_execz .LBB0_7
; %bb.6:
	v_mul_f16_e64 v131, 0xb836, v14
	v_mul_f16_e64 v129, 0xb836, v96
	;; [unrolled: 1-line block ×5, first 2 shown]
	v_fma_f16 v83, 0xbacd, v33, v131
	v_fma_f16 v84, v18, 0xbacd, -v129
	v_mul_f16_e32 v122, 0xbbf7, v105
	v_fma_f16 v130, 0x3722, v17, v144
	v_fma_f16 v133, v31, 0x3722, -v128
	v_add_f16_e32 v83, v83, v29
	v_add_f16_e32 v84, v84, v8
	v_mul_f16_e64 v137, 0x3a62, v22
	v_mul_f16_e32 v127, 0x3a62, v112
	v_fma_f16 v134, 0x2de8, v36, v132
	v_add_f16_e64 v83, v130, v83
	v_fma_f16 v130, v21, 0x2de8, -v122
	v_add_f16_e64 v84, v133, v84
	v_mul_f16_e64 v133, 0xb5c8, v27
	v_fma_f16 v135, 0xb8d2, v38, v137
	v_add_f16_e64 v83, v134, v83
	v_fma_f16 v134, v23, 0xb8d2, -v127
	v_add_f16_e64 v84, v130, v84
	v_mul_f16_e64 v130, 0xb5c8, v118
	v_mul_f16_e64 v152, 0xba62, v14
	v_add_f16_e64 v83, v135, v83
	v_fma_f16 v135, 0x3b76, v40, v133
	v_add_f16_e64 v84, v134, v84
	v_mul_f16_e64 v151, 0xb1e1, v32
	v_fma_f16 v134, v30, 0x3b76, -v130
	v_fma_f16 v136, 0xb8d2, v33, v152
	v_mul_f16_e64 v154, 0x3bb2, v19
	v_add_f16_e64 v83, v135, v83
	v_fma_f16 v135, 0xbbdd, v52, v151
	v_add_f16_e64 v84, v134, v84
	v_add_f16_e64 v134, v136, v29
	v_fma_f16 v136, 0xb461, v17, v154
	v_mul_f16_e64 v156, 0xb5c8, v20
	v_add_f16_e64 v83, v135, v83
	v_mul_f16_e64 v146, 0xb1e1, v123
	v_mul_f16_e64 v158, 0xb836, v22
	v_add_f16_e64 v134, v136, v134
	v_fma_f16 v135, 0x3b76, v36, v156
	v_mul_f16_e64 v157, 0x3964, v35
	v_fma_f16 v136, v34, 0xbbdd, -v146
	v_mul_f16_e64 v142, 0x3964, v126
	v_mul_f16_e64 v148, 0x3bf7, v27
	v_add_f16_e64 v134, v135, v134
	v_fma_f16 v135, 0xbacd, v38, v158
	v_fma_f16 v138, 0x39e9, v54, v157
	v_add_f16_e64 v84, v136, v84
	v_fma_f16 v136, v37, 0x39e9, -v142
	v_mul_f16_e64 v149, 0xb964, v32
	v_add_f16_e64 v134, v135, v134
	v_fma_f16 v135, 0x2de8, v40, v148
	v_mul_f16_e64 v162, 0xbbb2, v48
	v_add_f16_e64 v83, v138, v83
	v_add_f16_e64 v84, v136, v84
	v_mul_f16_e64 v136, 0xbbb2, v155
	v_add_f16_e64 v134, v135, v134
	v_fma_f16 v135, 0x39e9, v52, v149
	v_mul_f16_e64 v150, 0xb1e1, v35
	v_fma_f16 v138, 0xb461, v62, v162
	v_mul_f16_e64 v163, 0xba62, v96
	v_fma_f16 v139, v53, 0xb461, -v136
	v_add_f16_e64 v134, v135, v134
	v_fma_f16 v135, 0xbbdd, v54, v150
	v_add_f16_e64 v83, v138, v83
	v_fma_f16 v138, v18, 0xb8d2, -v163
	v_mul_f16_e64 v164, 0x3bb2, v95
	v_mul_f16_e64 v166, 0xbbb2, v14
	v_add_f16_e64 v84, v139, v84
	v_add_f16_e64 v165, v135, v134
	;; [unrolled: 1-line block ×3, first 2 shown]
	v_fma_f16 v138, v31, 0xb461, -v164
	v_mul_f16_e64 v167, 0xb5c8, v105
	v_fma_f16 v139, 0xb461, v33, v166
	v_mul_f16_e64 v169, 0x3836, v19
	v_mul_f16_e64 v170, 0xb836, v112
	v_add_f16_e64 v134, v138, v134
	v_fma_f16 v138, v21, 0x3b76, -v167
	v_add_f16_e64 v139, v139, v29
	v_fma_f16 v140, 0xbacd, v17, v169
	v_mul_f16_e64 v159, 0x3964, v20
	v_mul_f16_e64 v160, 0x3bf7, v118
	v_add_f16_e64 v134, v138, v134
	v_fma_f16 v138, v23, 0xbacd, -v170
	v_add_f16_e64 v141, v140, v139
	;; [unrolled: 6-line block ×3, first 2 shown]
	v_fma_f16 v145, 0x3722, v38, v139
	v_mul_f16_e64 v141, 0xb1e1, v27
	v_fma_f16 v171, v34, 0x39e9, -v140
	v_add_f16_e64 v134, v138, v134
	v_mul_f16_e64 v138, 0xb1e1, v126
	v_add_f16_e64 v145, v145, v143
	v_fma_f16 v172, 0xbbdd, v40, v141
	v_mul_f16_e64 v143, 0x3bf7, v32
	v_mul_f16_e64 v135, 0x3b29, v48
	v_add_f16_e64 v171, v171, v134
	v_fma_f16 v173, v37, 0xbbdd, -v138
	v_mul_f16_e64 v134, 0x3b29, v155
	v_add_f16_e64 v172, v172, v145
	v_fma_f16 v174, 0x2de8, v52, v143
	v_mul_f16_e64 v145, 0xb5c8, v35
	v_fma_f16 v168, 0x3722, v62, v135
	v_add_f16_e64 v171, v173, v171
	v_fma_f16 v175, v53, 0x3722, -v134
	v_add_f16_e64 v172, v174, v172
	v_fma_f16 v174, 0x3b76, v54, v145
	v_mul_f16_e64 v173, 0xbbb2, v96
	v_add_f16_e64 v96, v168, v165
	v_mul_f16_e64 v168, 0x3836, v95
	v_add_f16_e64 v95, v175, v171
	v_add_f16_e64 v171, v174, v172
	v_mul_f16_e64 v172, 0x2de8, v33
	v_mul_f16_e64 v175, 0xbbdd, v17
	v_fma_f16 v165, v18, 0xb461, -v173
	v_mul_f16_e64 v176, 0xb461, v36
	v_fma_f16 v174, v31, 0xbacd, -v168
	v_add_f16_e64 v90, v90, v172
	v_mul_f16_e64 v172, 0xba62, v48
	v_add_f16_e64 v98, v98, v175
	v_add_f16_e64 v165, v165, v8
	v_mul_f16_e32 v105, 0x3964, v105
	v_add_f16_e32 v90, v90, v29
	v_fma_f16 v175, 0xb8d2, v62, v172
	v_add_f16_e64 v107, v107, v176
	v_add_f16_e64 v165, v174, v165
	v_fma_f16 v174, v21, 0x39e9, -v105
	v_add_f16_e32 v98, v98, v90
	v_add_f16_e64 v90, v175, v171
	v_mul_f16_e64 v171, 0x3b76, v38
	v_mul_f16_e32 v112, 0xbb29, v112
	v_add_f16_e64 v165, v174, v165
	v_add_f16_e32 v98, v107, v98
	v_mul_f16_e32 v107, 0x3bf7, v123
	v_add_f16_e64 v117, v117, v171
	v_mul_f16_e32 v123, 0x2de8, v18
	v_mul_f16_e64 v171, 0x3722, v40
	v_fma_f16 v174, v23, 0x3722, -v112
	v_mul_f16_e32 v118, 0xb1e1, v118
	v_mul_f16_e64 v175, 0xbbdd, v31
	v_sub_f16_e32 v77, v123, v77
	v_add_f16_e32 v98, v117, v98
	v_add_f16_e64 v117, v120, v171
	v_add_f16_e64 v165, v174, v165
	v_fma_f16 v174, v30, 0xbbdd, -v118
	v_sub_f16_e64 v85, v175, v85
	v_add_f16_e32 v77, v77, v8
	v_mul_f16_e32 v123, 0xb461, v21
	v_add_f16_e32 v98, v117, v98
	v_mul_f16_e32 v117, 0xb5c8, v126
	v_mul_f16_e32 v126, 0xbacd, v52
	v_add_f16_e64 v165, v174, v165
	v_fma_f16 v174, v34, 0x2de8, -v107
	v_add_f16_e32 v77, v85, v77
	v_sub_f16_e32 v85, v123, v93
	v_mul_f16_e32 v93, 0x3b76, v23
	v_add_f16_e32 v125, v125, v126
	v_mul_f16_e32 v126, 0x3722, v33
	v_add_f16_e64 v120, v174, v165
	v_fma_f16 v123, v37, 0x3b76, -v117
	v_add_f16_e32 v77, v85, v77
	v_sub_f16_e32 v85, v93, v99
	v_mul_f16_e32 v99, 0xb8d2, v17
	v_add_f16_e32 v68, v68, v126
	v_add_f16_e32 v93, v123, v120
	v_mul_f16_e32 v120, 0x3722, v30
	v_mul_f16_e32 v123, 0xb8d2, v54
	v_add_f16_e32 v72, v72, v99
	v_add_f16_e32 v68, v68, v29
	v_mul_f16_e32 v99, 0xbbdd, v36
	v_add_f16_e32 v77, v85, v77
	v_sub_f16_e32 v85, v120, v106
	v_add_f16_e32 v98, v125, v98
	v_add_f16_e32 v68, v72, v68
	v_mul_f16_e64 v72, 0xba62, v155
	v_add_f16_e32 v76, v76, v99
	v_add_f16_e64 v106, v153, v123
	v_mul_f16_e32 v120, 0xbacd, v34
	v_add_f16_e32 v77, v85, v77
	v_mul_f16_e32 v85, 0xb461, v38
	v_fma_f16 v99, v53, 0xb8d2, -v72
	v_add_f16_e32 v68, v76, v68
	v_mul_f16_e32 v76, 0x3722, v18
	v_sub_f16_e32 v116, v120, v116
	v_add_f16_e32 v80, v80, v85
	v_add_f16_e32 v85, v99, v93
	;; [unrolled: 1-line block ×3, first 2 shown]
	v_mul_f16_e32 v98, 0xb8d2, v31
	v_sub_f16_e32 v64, v76, v64
	v_add_f16_e32 v76, v116, v77
	v_mul_f16_e32 v77, 0x39e9, v40
	v_add_f16_e32 v68, v80, v68
	v_sub_f16_e32 v65, v98, v65
	v_add_f16_e32 v64, v64, v8
	v_mul_f16_e32 v80, 0xbbdd, v21
	v_add_f16_e32 v77, v87, v77
	v_mul_f16_e32 v98, 0x39e9, v62
	v_alignbit_b32 v39, v39, v39, 16
	v_add_f16_e32 v64, v65, v64
	v_mul_f16_e32 v65, 0x3b76, v52
	v_sub_f16_e32 v70, v80, v70
	v_mul_f16_e32 v80, 0xb461, v23
	v_add_f16_e32 v68, v77, v68
	v_mul_f16_e32 v77, 0x39e9, v30
	v_add_f16_e32 v65, v97, v65
	v_add_f16_e32 v64, v70, v64
	v_sub_f16_e32 v70, v80, v73
	v_add_f16_e64 v73, v161, v98
	v_mul_f16_e32 v80, 0x2de8, v54
	v_add_f16_e32 v65, v65, v68
	v_mul_f16_e32 v68, 0x39e9, v33
	v_add_f16_e32 v64, v70, v64
	v_mul_f16_e32 v70, 0x2de8, v17
	v_fmac_f16_e64 v129, 0xbacd, v18
	v_fmac_f16_e64 v128, 0x3722, v31
	v_add_f16_e32 v58, v58, v68
	v_sub_f16_e32 v68, v77, v75
	v_mul_f16_e32 v77, 0x3b76, v34
	v_add_f16_e32 v60, v60, v70
	v_mul_f16_e32 v70, 0xb8d2, v36
	v_add_f16_e32 v58, v58, v29
	v_add_f16_e32 v64, v68, v64
	v_sub_f16_e32 v77, v77, v81
	v_add_f16_e32 v75, v104, v80
	v_fmac_f16_e64 v163, 0xb8d2, v18
	v_add_f16_e32 v58, v60, v58
	v_add_f16_e32 v60, v63, v70
	v_mul_f16_e32 v63, 0xbbdd, v38
	v_mul_f16_e32 v70, 0x2de8, v37
	v_add_f16_e32 v65, v75, v65
	v_fma_f16 v75, v33, 0xbacd, -v131
	v_add_f16_e32 v58, v60, v58
	v_add_f16_e32 v60, v67, v63
	v_add_f16_e32 v63, v77, v64
	v_mul_f16_e32 v64, 0xbacd, v40
	v_sub_f16_e32 v67, v70, v91
	v_mul_f16_e32 v70, 0xbacd, v62
	v_add_f16_e32 v58, v60, v58
	v_mul_f16_e32 v60, 0xbacd, v53
	v_add_f16_e32 v64, v71, v64
	;; [unrolled: 2-line block ×3, first 2 shown]
	v_mul_f16_e32 v67, 0x3b76, v18
	v_sub_f16_e32 v60, v60, v121
	v_add_f16_e32 v58, v64, v58
	v_add_f16_e32 v64, v74, v71
	v_mul_f16_e32 v74, 0x39e9, v31
	v_sub_f16_e32 v55, v67, v55
	v_add_f16_e32 v71, v73, v93
	v_mul_f16_e32 v73, 0x3722, v54
	v_mul_f16_e32 v67, 0x3722, v21
	v_sub_f16_e32 v56, v74, v56
	v_add_f16_e32 v55, v55, v8
	v_add_f16_e32 v58, v64, v58
	;; [unrolled: 1-line block ×4, first 2 shown]
	v_mul_f16_e32 v63, 0x3b76, v62
	v_add_f16_e32 v55, v56, v55
	v_sub_f16_e32 v56, v67, v57
	v_mul_f16_e32 v57, 0x2de8, v23
	v_add_f16_e32 v58, v64, v58
	v_alignbit_b32 v64, v8, v8, 16
	v_add_f16_e32 v63, v115, v63
	v_add_f16_e32 v55, v56, v55
	v_mul_f16_e32 v56, 0xb461, v30
	v_sub_f16_e32 v57, v57, v59
	v_mul_f16_e32 v59, 0xb8d2, v34
	v_pk_add_f16 v9, v9, v64 op_sel:[0,1] op_sel_hi:[1,0]
	v_add_f16_e32 v58, v63, v58
	v_sub_f16_e32 v56, v56, v61
	v_add_f16_e32 v55, v57, v55
	v_mul_f16_e32 v63, 0xbacd, v37
	v_pk_add_f16 v9, v39, v9
	v_add_f16_e32 v70, v124, v70
	v_add_f16_e32 v39, v75, v29
	;; [unrolled: 1-line block ×3, first 2 shown]
	v_sub_f16_e32 v56, v59, v66
	v_pk_add_f16 v9, v15, v9
	v_add_f16_e32 v65, v70, v65
	v_mul_f16_e32 v70, 0xbbdd, v53
	v_fmac_f16_e64 v164, 0xb461, v31
	v_add_f16_e32 v55, v56, v55
	v_sub_f16_e32 v56, v63, v69
	v_fma_f16 v69, v17, 0x3722, -v144
	v_pk_add_f16 v9, v12, v9
	v_fmac_f16_e64 v167, 0x3b76, v21
	v_fmac_f16_e64 v173, 0xb461, v18
	v_add_f16_e32 v55, v56, v55
	v_add_f16_e32 v15, v69, v39
	v_fma_f16 v39, v36, 0x2de8, -v132
	v_sub_f16_e32 v56, v70, v82
	v_pk_add_f16 v9, v13, v9
	v_fma_f16 v13, v33, 0xb8d2, -v152
	v_add_f16_e64 v69, v129, v8
	v_add_f16_e32 v12, v39, v15
	v_fma_f16 v15, v38, 0xb8d2, -v137
	v_add_f16_e32 v55, v56, v55
	v_add_f16_e32 v13, v13, v29
	v_fma_f16 v56, v17, 0xb461, -v154
	v_fma_f16 v33, v33, 0xb461, -v166
	v_add_f16_e32 v12, v15, v12
	v_fma_f16 v15, v40, 0x3b76, -v133
	v_pk_add_f16 v9, v10, v9
	v_add_f16_e32 v13, v56, v13
	v_fma_f16 v56, v36, 0x3b76, -v156
	v_add_f16_e64 v39, v128, v69
	v_add_f16_e32 v12, v15, v12
	v_fma_f16 v15, v52, 0xbbdd, -v151
	v_add_f16_e64 v69, v163, v8
	v_add_f16_e32 v13, v56, v13
	v_fma_f16 v56, v38, 0xbacd, -v158
	v_pk_add_f16 v9, v11, v9
	v_add_f16_e32 v12, v15, v12
	v_fma_f16 v15, v54, 0x39e9, -v157
	v_fmac_f16_e64 v170, 0xbacd, v23
	v_add_f16_e32 v13, v56, v13
	v_fma_f16 v56, v40, 0x2de8, -v148
	v_pk_add_f16 v6, v6, v9
	v_add_f16_e32 v12, v15, v12
	v_fma_f16 v15, v62, 0xb461, -v162
	v_add_f16_e64 v8, v173, v8
	v_add_f16_e32 v13, v56, v13
	v_add_f16_e64 v56, v164, v69
	v_fmac_f16_e64 v168, 0xbacd, v31
	v_add_f16_e32 v12, v15, v12
	v_fma_f16 v15, v52, 0x39e9, -v149
	v_fma_f16 v10, v38, 0x3722, -v139
	v_add_f16_e64 v56, v167, v56
	v_pk_add_f16 v6, v7, v6
	v_fmac_f16_e64 v160, 0x2de8, v30
	v_add_f16_e32 v13, v15, v13
	v_fma_f16 v15, v54, 0xbbdd, -v150
	v_add_f16_e64 v8, v168, v8
	v_fmac_f16_e32 v105, 0x39e9, v21
	v_fma_f16 v11, v40, 0xbbdd, -v141
	v_pk_add_f16 v4, v4, v6
	v_add_f16_e32 v13, v15, v13
	v_add_f16_e32 v15, v33, v29
	v_fma_f16 v29, v17, 0xbacd, -v169
	v_add_f16_e64 v33, v170, v56
	v_fmac_f16_e64 v140, 0x39e9, v34
	v_add_f16_e32 v8, v105, v8
	v_fmac_f16_e32 v112, 0x3722, v23
	v_add_f16_e32 v15, v29, v15
	v_fma_f16 v29, v36, 0x39e9, -v159
	v_add_f16_e64 v33, v160, v33
	v_pk_add_f16 v4, v5, v4
	v_fmac_f16_e64 v138, 0xbbdd, v37
	v_add_f16_e32 v8, v112, v8
	v_add_f16_e32 v15, v29, v15
	v_add_f16_e64 v29, v140, v33
	v_fmac_f16_e32 v118, 0xbbdd, v30
	v_pk_add_f16 v2, v2, v4
	v_bfi_b32 v67, 0xffff, v79, v101
	v_add_f16_e32 v10, v10, v15
	v_add_f16_e64 v7, v138, v29
	v_add_f16_e32 v6, v118, v8
	v_fmac_f16_e64 v134, 0x3722, v53
	v_fma_f16 v5, v62, 0xb8d2, -v172
	v_add_f16_e32 v9, v11, v10
	v_fma_f16 v10, v52, 0x2de8, -v143
	v_pk_add_f16 v2, v3, v2
	v_bfi_b32 v57, 0xffff, v86, v102
	v_add_f16_e64 v4, v134, v7
	v_and_b32_e32 v3, 0xffff, v47
	v_add_f16_e32 v9, v10, v9
	v_fma_f16 v10, v54, 0x3b76, -v145
	v_pk_add_f16 v7, v67, v64
	v_pk_add_f16 v0, v0, v2
	v_add_lshl_u32 v2, v45, v3, 2
	v_fma_f16 v56, v62, 0x3722, -v135
	v_add_f16_e32 v8, v10, v9
	v_pk_add_f16 v3, v57, v7
	v_pk_mul_f16 v10, 0x35c8, v19 op_sel_hi:[0,1]
	v_pk_add_f16 v0, v1, v0
	v_pk_mul_f16 v11, 0xbacd, v21 op_sel_hi:[0,1]
	v_add_f16_e32 v5, v5, v8
	v_pk_mul_f16 v8, 0xbbdd, v18 op_sel_hi:[0,1]
	v_bfi_b32 v61, 0xffff, v88, v103
	v_add_f16_e32 v9, v56, v13
	v_pk_mul_f16 v13, 0x39e9, v23 op_sel_hi:[0,1]
	v_fmac_f16_e32 v122, 0x2de8, v21
	v_pk_fma_f16 v7, 0xb1e1, v14, v8 op_sel:[0,0,1] op_sel_hi:[0,1,0] neg_lo:[0,1,0] neg_hi:[0,1,0]
	v_pk_fma_f16 v1, 0xb1e1, v14, v8 op_sel:[0,0,1] op_sel_hi:[0,1,0]
	v_pk_fma_f16 v8, 0x3b76, v17, v10 op_sel_hi:[0,1,1] neg_lo:[0,0,1] neg_hi:[0,0,1]
	v_pk_fma_f16 v10, 0x3b76, v17, v10 op_sel_hi:[0,1,1]
	v_bfi_b32 v73, 0xffff, v89, v108
	v_pk_add_f16 v7, v7, v64
	v_pk_add_f16 v1, v1, v64
	;; [unrolled: 1-line block ×3, first 2 shown]
	v_add_f16_e32 v39, v122, v39
	v_fmac_f16_e32 v127, 0xb8d2, v23
	v_pk_add_f16 v7, v8, v7
	v_pk_fma_f16 v8, 0xb836, v20, v11 op_sel:[0,0,1] op_sel_hi:[0,1,0] neg_lo:[0,1,0] neg_hi:[0,1,0]
	v_pk_add_f16 v1, v10, v1
	v_pk_fma_f16 v10, 0xb836, v20, v11 op_sel:[0,0,1] op_sel_hi:[0,1,0]
	v_pk_mul_f16 v11, 0xb8d2, v30 op_sel_hi:[0,1]
	v_bfi_b32 v74, 0xffff, v92, v110
	v_pk_add_f16 v7, v8, v7
	v_pk_fma_f16 v8, 0x3964, v22, v13 op_sel:[0,0,1] op_sel_hi:[0,1,0] neg_lo:[0,1,0] neg_hi:[0,1,0]
	v_pk_add_f16 v1, v10, v1
	v_pk_fma_f16 v10, 0x3964, v22, v13 op_sel:[0,0,1] op_sel_hi:[0,1,0]
	v_pk_add_f16 v3, v73, v3
	v_pk_mul_f16 v13, 0x3722, v34 op_sel_hi:[0,1]
	v_pk_add_f16 v7, v8, v7
	v_pk_fma_f16 v8, 0xba62, v27, v11 op_sel:[0,0,1] op_sel_hi:[0,1,0] neg_lo:[0,1,0] neg_hi:[0,1,0]
	v_pk_add_f16 v1, v10, v1
	v_pk_fma_f16 v10, 0xba62, v27, v11 op_sel:[0,0,1] op_sel_hi:[0,1,0]
	v_add_f16_e32 v39, v127, v39
	v_fmac_f16_e64 v130, 0x3b76, v30
	v_bfi_b32 v59, 0xffff, v94, v111
	v_pk_add_f16 v3, v74, v3
	v_mul_f16_e32 v99, 0xb8d2, v37
	v_pk_add_f16 v7, v8, v7
	v_pk_fma_f16 v8, 0x3b29, v32, v13 op_sel:[0,0,1] op_sel_hi:[0,1,0] neg_lo:[0,1,0] neg_hi:[0,1,0]
	v_pk_mul_f16 v11, 0xb461, v37 op_sel_hi:[0,1]
	v_pk_add_f16 v1, v10, v1
	v_pk_fma_f16 v10, 0x3b29, v32, v13 op_sel:[0,0,1] op_sel_hi:[0,1,0]
	v_add_f16_e64 v39, v130, v39
	v_fmac_f16_e64 v146, 0xbbdd, v34
	v_bfi_b32 v66, 0xffff, v100, v114
	v_fmac_f16_e32 v107, 0x2de8, v34
	v_pk_add_f16 v3, v59, v3
	v_sub_f16_e32 v87, v99, v119
	v_mul_f16_e32 v68, 0x39e9, v53
	v_pk_add_f16 v7, v8, v7
	v_pk_fma_f16 v8, 0xbbb2, v35, v11 op_sel:[0,0,1] op_sel_hi:[0,1,0] neg_lo:[0,1,0] neg_hi:[0,1,0]
	v_pk_mul_f16 v13, 0x2de8, v53 op_sel_hi:[0,1]
	v_pk_add_f16 v1, v10, v1
	v_pk_fma_f16 v10, 0xbbb2, v35, v11 op_sel:[0,0,1] op_sel_hi:[0,1,0]
	v_add_f16_e64 v39, v146, v39
	v_fmac_f16_e64 v142, 0x39e9, v37
	v_bfi_b32 v63, 0xffff, v109, v113
	v_add_f16_e32 v6, v107, v6
	v_fmac_f16_e32 v117, 0x3b76, v37
	v_pk_add_f16 v3, v66, v3
	v_add_f16_e32 v76, v87, v76
	v_sub_f16_e64 v68, v68, v147
	v_pk_add_f16 v7, v8, v7
	v_pk_fma_f16 v8, 0x3bf7, v48, v13 op_sel:[0,0,1] op_sel_hi:[0,1,0] neg_lo:[0,1,0] neg_hi:[0,1,0]
	v_pk_add_f16 v1, v10, v1
	v_pk_fma_f16 v10, 0x3bf7, v48, v13 op_sel:[0,0,1] op_sel_hi:[0,1,0]
	v_add_f16_e64 v39, v142, v39
	v_fmac_f16_e64 v136, 0xb461, v53
	v_add_f16_e32 v6, v117, v6
	v_fmac_f16_e32 v72, 0xb8d2, v53
	v_pk_add_f16 v3, v63, v3
	v_add_f16_e32 v68, v68, v76
	v_pk_add_f16 v0, v16, v0
	v_pack_b32_f16 v14, v84, v83
	v_pk_add_f16 v7, v8, v7
	v_pk_add_f16 v1, v10, v1
	v_add_f16_e64 v39, v136, v39
	v_add_f16_e32 v6, v72, v6
	v_alignbit_b32 v11, v58, v3, 16
	v_pack_b32_f16 v3, v55, v3
	v_pack_b32_f16 v13, v68, v71
	;; [unrolled: 1-line block ×5, first 2 shown]
	ds_store_2addr_b32 v2, v0, v14 offset1:7
	v_alignbit_b32 v0, v7, v1, 16
	v_alignbit_b32 v1, v1, v7, 16
	v_pack_b32_f16 v4, v4, v9
	v_pack_b32_f16 v7, v39, v12
	;; [unrolled: 1-line block ×3, first 2 shown]
	v_perm_b32 v6, v42, v28, 0x5040100
	v_perm_b32 v9, v50, v26, 0x5040100
	;; [unrolled: 1-line block ×4, first 2 shown]
	ds_store_2addr_b32 v2, v3, v11 offset0:1 offset1:2
	ds_store_2addr_b32 v2, v8, v13 offset0:3 offset1:4
	;; [unrolled: 1-line block ×7, first 2 shown]
	ds_store_b32 v2, v14 offset:64
.LBB0_7:
	s_wait_alu 0xfffe
	s_or_b32 exec_lo, exec_lo, s0
	v_and_b32_e32 v0, 0xff, v44
	s_load_b128 s[4:7], s[4:5], 0x0
	global_wb scope:SCOPE_SE
	s_wait_dscnt 0x0
	s_wait_kmcnt 0x0
	s_barrier_signal -1
	s_barrier_wait -1
	v_mul_lo_u16 v0, 0xf1, v0
	global_inv scope:SCOPE_SE
	v_add_lshl_u32 v48, v45, v44, 2
	v_cmp_gt_u16_e64 s0, 51, v44
	v_lshrrev_b16 v3, 12, v0
	s_delay_alu instid0(VALU_DEP_3) | instskip(SKIP_2) | instid1(VALU_DEP_4)
	v_add_nc_u32_e32 v18, 0x400, v48
	v_add_nc_u32_e32 v16, 0x600, v48
	;; [unrolled: 1-line block ×3, first 2 shown]
	v_mul_lo_u16 v0, v3, 17
	v_and_b32_e32 v3, 0xffff, v3
	s_delay_alu instid0(VALU_DEP_2) | instskip(NEXT) | instid1(VALU_DEP_2)
	v_sub_nc_u16 v0, v44, v0
	v_mul_u32_u24_e32 v3, 0xdd, v3
	s_delay_alu instid0(VALU_DEP_2) | instskip(NEXT) | instid1(VALU_DEP_1)
	v_and_b32_e32 v2, 0xff, v0
	v_mul_u32_u24_e32 v0, 12, v2
	s_delay_alu instid0(VALU_DEP_3) | instskip(NEXT) | instid1(VALU_DEP_2)
	v_add_nc_u32_e32 v2, v3, v2
	v_lshlrev_b32_e32 v0, 2, v0
	s_clause 0x2
	global_load_b128 v[12:15], v0, s[2:3]
	global_load_b128 v[8:11], v0, s[2:3] offset:16
	global_load_b128 v[4:7], v0, s[2:3] offset:32
	ds_load_2addr_b32 v[0:1], v48 offset1:85
	ds_load_2addr_b32 v[31:32], v48 offset0:170 offset1:255
	ds_load_b32 v55, v48 offset:4080
	ds_load_2addr_b32 v[33:34], v18 offset0:84 offset1:169
	v_add_nc_u32_e32 v18, 0xc00, v48
	ds_load_2addr_b32 v[65:66], v16 offset0:126 offset1:211
	ds_load_2addr_b32 v[67:68], v17 offset0:168 offset1:253
	;; [unrolled: 1-line block ×3, first 2 shown]
	global_wb scope:SCOPE_SE
	s_wait_loadcnt_dscnt 0x0
	s_barrier_signal -1
	s_barrier_wait -1
	global_inv scope:SCOPE_SE
	v_lshrrev_b32_e32 v21, 16, v1
	v_lshrrev_b32_e32 v36, 16, v0
	;; [unrolled: 1-line block ×18, first 2 shown]
	v_mul_f16_e32 v80, v1, v64
	v_mul_f16_e32 v40, v21, v64
	;; [unrolled: 1-line block ×4, first 2 shown]
	v_lshrrev_b32_e32 v56, 16, v4
	v_fmac_f16_e32 v80, v21, v12
	v_lshrrev_b32_e32 v53, 16, v7
	v_mul_f16_e32 v84, v32, v62
	v_mul_f16_e32 v19, v65, v59
	v_fma_f16 v94, v1, v12, -v40
	v_fmac_f16_e32 v82, v35, v13
	v_fma_f16 v1, v65, v9, -v87
	v_add_f16_e32 v65, v36, v80
	v_lshrrev_b32_e32 v60, 16, v8
	v_lshrrev_b32_e32 v57, 16, v11
	;; [unrolled: 1-line block ×3, first 2 shown]
	v_mul_f16_e32 v81, v35, v63
	v_mul_f16_e32 v38, v33, v61
	;; [unrolled: 1-line block ×4, first 2 shown]
	v_fmac_f16_e32 v84, v39, v14
	v_add_f16_e32 v65, v65, v82
	v_lshrrev_b32_e32 v54, 16, v5
	v_mul_f16_e32 v83, v39, v62
	v_mul_f16_e32 v85, v72, v61
	;; [unrolled: 1-line block ×6, first 2 shown]
	v_fma_f16 v81, v31, v13, -v81
	v_fmac_f16_e32 v38, v72, v15
	v_fmac_f16_e32 v22, v77, v4
	v_fma_f16 v31, v55, v7, -v93
	v_add_f16_e32 v55, v0, v94
	v_add_f16_e32 v65, v65, v84
	v_lshrrev_b32_e32 v58, 16, v10
	v_mul_f16_e32 v86, v73, v60
	v_mul_f16_e32 v89, v76, v57
	;; [unrolled: 1-line block ×5, first 2 shown]
	v_fma_f16 v83, v32, v14, -v83
	v_fma_f16 v40, v33, v15, -v85
	v_fmac_f16_e32 v37, v73, v8
	v_fmac_f16_e32 v30, v76, v11
	;; [unrolled: 1-line block ×4, first 2 shown]
	v_add_f16_e32 v79, v38, v22
	v_sub_f16_e32 v85, v38, v22
	v_add_f16_e32 v55, v55, v81
	v_add_f16_e32 v38, v65, v38
	v_mul_f16_e32 v88, v75, v58
	v_mul_f16_e32 v20, v66, v58
	;; [unrolled: 1-line block ×3, first 2 shown]
	v_fma_f16 v39, v34, v8, -v86
	v_fmac_f16_e32 v19, v74, v9
	v_fma_f16 v35, v67, v11, -v89
	v_fma_f16 v34, v68, v4, -v90
	;; [unrolled: 1-line block ×4, first 2 shown]
	v_sub_f16_e32 v68, v94, v31
	v_sub_f16_e32 v69, v80, v29
	v_add_f16_e32 v87, v37, v30
	v_sub_f16_e32 v89, v37, v30
	v_add_f16_e32 v55, v55, v83
	v_add_f16_e32 v37, v38, v37
	v_fma_f16 v21, v66, v10, -v88
	v_fmac_f16_e32 v20, v75, v10
	v_fmac_f16_e32 v23, v78, v5
	v_add_f16_e32 v66, v94, v31
	v_add_f16_e32 v67, v80, v29
	;; [unrolled: 1-line block ×4, first 2 shown]
	v_sub_f16_e32 v72, v81, v32
	v_sub_f16_e32 v73, v82, v27
	v_add_f16_e32 v78, v40, v34
	v_sub_f16_e32 v80, v40, v34
	v_mul_f16_e32 v81, 0xb770, v69
	v_mul_f16_e32 v82, 0xb770, v68
	v_mul_f16_e32 v90, 0xba95, v69
	v_mul_f16_e32 v92, 0xbbf1, v69
	v_mul_f16_e32 v94, 0xbb7b, v69
	v_add_f16_e32 v40, v55, v40
	v_add_f16_e32 v37, v37, v19
	;; [unrolled: 1-line block ×4, first 2 shown]
	v_sub_f16_e32 v76, v83, v33
	v_sub_f16_e32 v77, v84, v23
	v_add_f16_e32 v86, v39, v35
	v_sub_f16_e32 v88, v39, v35
	v_mul_f16_e32 v91, 0xba95, v68
	v_mul_f16_e32 v93, 0xbbf1, v68
	;; [unrolled: 1-line block ×12, first 2 shown]
	v_fma_f16 v83, v66, 0x3b15, -v81
	v_fmamk_f16 v84, v67, 0x3b15, v82
	v_fmac_f16_e32 v81, 0x3b15, v66
	v_fma_f16 v138, v66, 0x388b, -v90
	v_fmac_f16_e32 v90, 0x388b, v66
	v_fma_f16 v140, v66, 0x2fb7, -v92
	v_fma_f16 v142, v66, 0xb5ac, -v94
	v_add_f16_e32 v39, v40, v39
	v_add_f16_e32 v37, v37, v20
	v_mul_f16_e32 v101, 0xbb7b, v72
	v_mul_f16_e32 v103, 0xb3a8, v72
	;; [unrolled: 1-line block ×9, first 2 shown]
	v_fma_f16 v82, v67, 0x3b15, -v82
	v_fma_f16 v139, 0x388b, v67, v91
	v_fma_f16 v91, v67, 0x388b, -v91
	v_fma_f16 v141, 0x2fb7, v67, v93
	v_fmac_f16_e32 v92, 0x2fb7, v66
	v_fma_f16 v93, v67, 0x2fb7, -v93
	v_fma_f16 v143, 0xb5ac, v67, v95
	v_fmac_f16_e32 v94, 0xb5ac, v66
	v_fma_f16 v95, v67, 0xb5ac, -v95
	v_fma_f16 v144, v66, 0xb9fd, -v96
	v_fma_f16 v145, 0xb9fd, v67, v97
	v_fmac_f16_e32 v96, 0xb9fd, v66
	v_fma_f16 v97, v67, 0xb9fd, -v97
	;; [unrolled: 4-line block ×3, first 2 shown]
	v_fma_f16 v67, v70, 0x388b, -v98
	v_fmamk_f16 v68, v71, 0x388b, v99
	v_fmac_f16_e32 v98, 0x388b, v70
	v_fma_f16 v148, v70, 0xb5ac, -v100
	v_fmac_f16_e32 v100, 0xb5ac, v70
	v_fma_f16 v150, v70, 0xbbc4, -v102
	v_fma_f16 v152, v70, 0xb9fd, -v104
	v_add_f16_e32 v55, v0, v83
	v_add_f16_e32 v65, v36, v84
	;; [unrolled: 1-line block ×3, first 2 shown]
	v_add_f16_e64 v83, v0, v138
	v_add_f16_e32 v90, v0, v90
	v_add_f16_e64 v138, v0, v140
	v_add_f16_e64 v140, v0, v142
	v_add_f16_e32 v39, v39, v1
	v_add_f16_e32 v30, v37, v30
	v_mul_f16_e32 v108, 0xbbf1, v77
	v_mul_f16_e32 v109, 0xbbf1, v76
	;; [unrolled: 1-line block ×11, first 2 shown]
	v_fma_f16 v149, 0xb5ac, v71, v101
	v_fma_f16 v151, 0xbbc4, v71, v103
	v_fmac_f16_e32 v102, 0xbbc4, v70
	v_fma_f16 v103, v71, 0xbbc4, -v103
	v_fma_f16 v153, 0xb9fd, v71, v105
	v_fmac_f16_e32 v104, 0xb9fd, v70
	v_fma_f16 v105, v71, 0xb9fd, -v105
	v_fma_f16 v154, v70, 0x2fb7, -v106
	v_fma_f16 v155, 0x2fb7, v71, v107
	v_fmac_f16_e32 v106, 0x2fb7, v70
	v_fma_f16 v107, v71, 0x2fb7, -v107
	v_fma_f16 v156, v70, 0x3b15, -v73
	v_fmac_f16_e32 v73, 0x3b15, v70
	v_fma_f16 v70, v71, 0x3b15, -v72
	v_fma_f16 v160, v74, 0xb5ac, -v112
	;; [unrolled: 1-line block ×3, first 2 shown]
	v_add_f16_e32 v82, v36, v82
	v_add_f16_e64 v84, v36, v139
	v_add_f16_e32 v91, v36, v91
	v_add_f16_e64 v139, v36, v141
	v_add_f16_e32 v92, v0, v92
	v_add_f16_e32 v93, v36, v93
	v_add_f16_e64 v141, v36, v143
	v_add_f16_e32 v94, v0, v94
	;; [unrolled: 3-line block ×3, first 2 shown]
	v_add_f16_e64 v145, v36, v147
	v_add_f16_e32 v36, v36, v66
	v_add_f16_e32 v38, v67, v55
	;; [unrolled: 1-line block ×5, first 2 shown]
	v_add_f16_e64 v81, v150, v138
	v_add_f16_e64 v90, v152, v140
	v_add_f16_e32 v39, v39, v21
	v_add_f16_e32 v22, v30, v22
	v_mul_f16_e32 v119, 0xbb7b, v80
	v_mul_f16_e32 v125, 0xbbf1, v80
	;; [unrolled: 1-line block ×3, first 2 shown]
	v_mul_f16_e64 v134, 0x33a8, v89
	v_fma_f16 v99, v71, 0x388b, -v99
	v_fma_f16 v101, v71, 0xb5ac, -v101
	v_fma_f16 v157, 0x3b15, v71, v72
	v_fma_f16 v71, v74, 0x2fb7, -v108
	v_fmamk_f16 v72, v75, 0x2fb7, v109
	v_fmac_f16_e32 v108, 0x2fb7, v74
	v_fma_f16 v158, v74, 0xbbc4, -v110
	v_fmac_f16_e32 v110, 0xbbc4, v74
	v_fma_f16 v161, 0xb5ac, v75, v113
	v_fmac_f16_e32 v112, 0xb5ac, v74
	v_fma_f16 v113, v75, 0xb5ac, -v113
	v_fma_f16 v163, 0x3b15, v75, v115
	v_fmac_f16_e32 v114, 0x3b15, v74
	v_fma_f16 v115, v75, 0x3b15, -v115
	v_fma_f16 v164, v74, 0x388b, -v116
	v_fma_f16 v165, 0x388b, v75, v117
	v_fmac_f16_e32 v116, 0x388b, v74
	v_fma_f16 v117, v75, 0x388b, -v117
	v_fma_f16 v166, v74, 0xb9fd, -v77
	v_fmac_f16_e32 v77, 0xb9fd, v74
	v_fma_f16 v74, v75, 0xb9fd, -v76
	v_fma_f16 v172, v78, 0x2fb7, -v124
	v_add_f16_e64 v142, v0, v144
	v_add_f16_e32 v96, v0, v96
	v_add_f16_e64 v144, v0, v146
	v_add_f16_e32 v0, v0, v69
	v_add_f16_e64 v66, v148, v83
	v_add_f16_e64 v67, v149, v84
	v_add_f16_e32 v83, v102, v92
	v_add_f16_e32 v84, v103, v93
	;; [unrolled: 1-line block ×6, first 2 shown]
	v_add_f16_e64 v70, v160, v81
	v_add_f16_e64 v81, v162, v90
	v_add_f16_e32 v35, v39, v35
	v_add_f16_e32 v22, v22, v23
	v_mul_f16_e32 v118, 0xbb7b, v85
	v_mul_f16_e32 v120, 0x394e, v85
	;; [unrolled: 1-line block ×8, first 2 shown]
	v_mul_f16_e64 v137, 0x3770, v88
	v_fma_f16 v167, 0xb9fd, v75, v76
	v_fmamk_f16 v76, v79, 0xb5ac, v119
	v_fma_f16 v173, 0x2fb7, v79, v125
	v_fmac_f16_e32 v124, 0x2fb7, v78
	v_fma_f16 v125, v79, 0x2fb7, -v125
	v_fma_f16 v175, 0xbbc4, v79, v127
	v_fma_f16 v127, v79, 0xbbc4, -v127
	v_fma_f16 v182, v86, 0xbbc4, -v134
	v_add_f16_e32 v65, v99, v82
	v_add_f16_e32 v69, v101, v91
	v_add_f16_e64 v82, v151, v139
	v_add_f16_e64 v91, v153, v141
	v_add_f16_e32 v0, v73, v0
	v_add_f16_e32 v40, v72, v40
	;; [unrolled: 1-line block ×8, first 2 shown]
	v_add_f16_e64 v74, v172, v81
	v_add_f16_e32 v34, v35, v34
	v_add_f16_e32 v22, v22, v27
	v_mul_f16_e64 v128, 0xb94e, v89
	v_mul_f16_e64 v135, 0x33a8, v88
	v_fma_f16 v109, v75, 0x2fb7, -v109
	v_fma_f16 v159, 0xbbc4, v75, v111
	v_fma_f16 v111, v75, 0xbbc4, -v111
	v_fma_f16 v75, v78, 0xb5ac, -v118
	v_fmac_f16_e32 v118, 0xb5ac, v78
	v_fma_f16 v168, v78, 0xb9fd, -v120
	v_fmac_f16_e32 v120, 0xb9fd, v78
	v_fma_f16 v170, v78, 0x3b15, -v122
	v_fmac_f16_e32 v122, 0x3b15, v78
	v_fma_f16 v174, v78, 0xbbc4, -v126
	v_fmac_f16_e32 v126, 0xbbc4, v78
	v_fma_f16 v176, v78, 0x388b, -v85
	v_fmac_f16_e32 v85, 0x388b, v78
	v_fma_f16 v78, v79, 0x388b, -v80
	v_fmac_f16_e64 v134, 0xbbc4, v86
	v_add_f16_e64 v94, v154, v142
	v_add_f16_e64 v98, v156, v144
	v_add_f16_e32 v38, v71, v38
	v_add_f16_e64 v71, v161, v82
	v_add_f16_e64 v82, v163, v91
	v_add_f16_e32 v0, v77, v0
	v_add_f16_e32 v40, v76, v40
	;; [unrolled: 1-line block ×6, first 2 shown]
	v_add_f16_e64 v33, v182, v74
	v_add_f16_e32 v22, v22, v29
	v_fma_f16 v29, v87, 0x3b15, -v137
	v_sub_f16_e32 v74, v19, v20
	v_mul_f16_e64 v129, 0xb94e, v88
	v_mul_f16_e64 v130, 0x3bf1, v89
	;; [unrolled: 1-line block ×4, first 2 shown]
	v_mul_f16_e32 v89, 0xbb7b, v89
	v_fma_f16 v119, v79, 0xb5ac, -v119
	v_fma_f16 v169, 0xb9fd, v79, v121
	v_fma_f16 v121, v79, 0xb9fd, -v121
	v_fma_f16 v171, 0x3b15, v79, v123
	v_fma_f16 v123, v79, 0x3b15, -v123
	v_fma_f16 v177, 0x388b, v79, v80
	v_fma_f16 v79, v86, 0xb9fd, -v128
	v_fma_f16 v183, 0xbbc4, v87, v135
	v_add_f16_e32 v55, v108, v55
	v_add_f16_e32 v65, v109, v65
	v_add_f16_e64 v90, v164, v94
	v_add_f16_e64 v94, v166, v98
	v_add_f16_e32 v38, v75, v38
	v_add_f16_e64 v75, v173, v82
	v_add_f16_e32 v36, v78, v36
	v_add_f16_e32 v30, v30, v32
	v_add_f16_e64 v32, v134, v76
	v_mul_f16_e32 v27, 0xbb7b, v88
	v_add_f16_e32 v76, v29, v84
	v_add_f16_e32 v78, v1, v21
	v_mul_f16_e32 v29, 0xb3a8, v74
	v_sub_f16_e32 v1, v1, v21
	v_mul_f16_e64 v131, 0x3bf1, v88
	v_fma_f16 v80, 0xb9fd, v87, v129
	v_fmac_f16_e64 v128, 0xb9fd, v86
	v_fma_f16 v129, v87, 0xb9fd, -v129
	v_fma_f16 v180, v86, 0x388b, -v132
	v_fma_f16 v135, v87, 0xbbc4, -v135
	v_add_f16_e64 v66, v158, v66
	v_add_f16_e64 v67, v159, v67
	v_add_f16_e32 v69, v111, v69
	v_add_f16_e32 v55, v118, v55
	;; [unrolled: 1-line block ×3, first 2 shown]
	v_add_f16_e64 v70, v170, v70
	v_add_f16_e64 v81, v174, v90
	;; [unrolled: 1-line block ×3, first 2 shown]
	v_add_f16_e32 v37, v79, v38
	v_add_f16_e64 v34, v183, v75
	v_add_f16_e32 v31, v30, v31
	v_fma_f16 v30, v86, 0xb5ac, -v89
	v_fmamk_f16 v75, v87, 0xb5ac, v27
	v_fma_f16 v21, v87, 0xb5ac, -v27
	v_fma_f16 v27, v78, 0xbbc4, -v29
	v_add_f16_e32 v19, v19, v20
	v_mul_f16_e32 v20, 0xb3a8, v1
	v_mul_f16_e64 v133, 0xba95, v88
	v_fma_f16 v178, v86, 0x2fb7, -v130
	v_fma_f16 v179, 0x2fb7, v87, v131
	v_fma_f16 v131, v87, 0x2fb7, -v131
	v_add_f16_e32 v68, v110, v68
	v_add_f16_e64 v66, v168, v66
	v_add_f16_e64 v67, v169, v67
	v_add_f16_e32 v69, v121, v69
	v_add_f16_e32 v38, v80, v40
	v_add_f16_e64 v39, v128, v55
	v_add_f16_e64 v40, v129, v65
	;; [unrolled: 1-line block ×4, first 2 shown]
	v_add_f16_e32 v77, v30, v90
	v_add_f16_e32 v21, v21, v36
	;; [unrolled: 1-line block ×3, first 2 shown]
	v_mul_f16_e32 v30, 0x3770, v74
	v_fmamk_f16 v27, v19, 0xbbc4, v20
	v_fmac_f16_e32 v29, 0xbbc4, v78
	v_fma_f16 v20, v19, 0xbbc4, -v20
	v_mul_f16_e32 v37, 0x3770, v1
	v_fmac_f16_e64 v130, 0x2fb7, v86
	v_fma_f16 v181, 0x388b, v87, v133
	v_add_f16_e32 v68, v120, v68
	v_add_f16_e64 v71, v171, v71
	v_add_f16_e64 v55, v178, v66
	;; [unrolled: 1-line block ×4, first 2 shown]
	v_fma_f16 v80, v78, 0x3b15, -v30
	v_add_f16_e32 v38, v27, v38
	v_add_f16_e32 v27, v29, v39
	;; [unrolled: 1-line block ×3, first 2 shown]
	v_fmamk_f16 v20, v19, 0x3b15, v37
	v_mul_f16_e32 v29, 0xb94e, v74
	v_fma_f16 v37, v19, 0x3b15, -v37
	v_mul_f16_e32 v40, 0xb94e, v1
	v_fma_f16 v133, v87, 0x388b, -v133
	v_add_f16_e64 v95, v155, v143
	v_add_f16_e32 v73, v123, v73
	v_add_f16_e64 v66, v130, v68
	v_add_f16_e64 v68, v181, v71
	v_add_f16_e32 v39, v80, v55
	v_fmac_f16_e32 v30, 0x3b15, v78
	v_add_f16_e32 v20, v20, v65
	v_fma_f16 v55, v78, 0xb9fd, -v29
	v_add_f16_e32 v80, v37, v67
	v_mul_f16_e32 v37, 0x3a95, v74
	v_fmamk_f16 v65, v19, 0xb9fd, v40
	v_fma_f16 v184, v86, 0x3b15, -v136
	v_add_f16_e64 v91, v165, v95
	v_add_f16_e64 v23, v133, v73
	v_add_f16_e32 v30, v30, v66
	v_add_f16_e32 v35, v55, v35
	v_fma_f16 v40, v19, 0xb9fd, -v40
	v_fma_f16 v55, v78, 0x388b, -v37
	v_add_f16_e32 v66, v65, v68
	v_mul_f16_e32 v65, 0x3a95, v1
	v_add_f16_e64 v99, v157, v145
	v_add_f16_e32 v96, v106, v96
	v_fmac_f16_e64 v132, 0x388b, v86
	v_fma_f16 v185, 0x3b15, v87, v137
	v_add_f16_e32 v72, v122, v72
	v_add_f16_e64 v82, v175, v91
	v_add_f16_e64 v71, v184, v81
	v_add_f16_e32 v81, v40, v23
	v_add_f16_e32 v23, v55, v33
	v_mul_f16_e32 v33, 0xbb7b, v74
	v_mul_f16_e32 v40, 0xbb7b, v1
	v_fmamk_f16 v55, v19, 0x388b, v65
	v_fmac_f16_e32 v37, 0x388b, v78
	v_fma_f16 v65, v19, 0x388b, -v65
	v_add_f16_e64 v95, v167, v99
	v_add_f16_e32 v92, v116, v96
	v_add_f16_e32 v0, v85, v0
	v_add_f16_e64 v69, v132, v72
	v_add_f16_e64 v72, v185, v82
	v_fmac_f16_e32 v89, 0xb5ac, v86
	v_fmac_f16_e32 v29, 0xb9fd, v78
	v_fma_f16 v67, v78, 0xb5ac, -v33
	v_fmamk_f16 v68, v19, 0xb5ac, v40
	v_add_f16_e32 v32, v37, v32
	v_add_f16_e32 v37, v65, v70
	v_mul_f16_e32 v65, 0x3bf1, v74
	v_mul_f16_e32 v1, 0x3bf1, v1
	v_add_f16_e64 v91, v177, v95
	v_add_f16_e32 v83, v126, v92
	v_fmac_f16_e64 v136, 0x3b15, v86
	v_add_f16_e32 v0, v89, v0
	v_add_f16_e32 v29, v29, v69
	v_add_f16_e32 v34, v55, v34
	v_add_f16_e32 v55, v67, v71
	v_add_f16_e32 v67, v68, v72
	v_fma_f16 v68, v78, 0x2fb7, -v65
	v_fmamk_f16 v69, v19, 0x2fb7, v1
	v_fmac_f16_e32 v65, 0x2fb7, v78
	v_fma_f16 v1, v19, 0x2fb7, -v1
	v_add_f16_e32 v75, v75, v91
	v_add_f16_e64 v73, v136, v83
	v_fmac_f16_e32 v33, 0xb5ac, v78
	v_fma_f16 v40, v19, 0xb5ac, -v40
	v_add_f16_e32 v0, v65, v0
	v_add_f16_e32 v1, v1, v21
	v_add_lshl_u32 v65, v45, v2, 2
	v_pack_b32_f16 v2, v31, v22
	v_pack_b32_f16 v21, v36, v38
	v_add_f16_e32 v19, v68, v77
	v_add_f16_e32 v3, v69, v75
	v_pack_b32_f16 v20, v39, v20
	v_pack_b32_f16 v22, v35, v66
	v_add_f16_e32 v33, v33, v73
	v_add_f16_e32 v40, v40, v76
	ds_store_2addr_b32 v65, v2, v21 offset1:17
	ds_store_2addr_b32 v65, v20, v22 offset0:34 offset1:51
	v_pack_b32_f16 v2, v23, v34
	v_pack_b32_f16 v20, v55, v67
	;; [unrolled: 1-line block ×9, first 2 shown]
	ds_store_2addr_b32 v65, v2, v20 offset0:68 offset1:85
	ds_store_2addr_b32 v65, v3, v0 offset0:102 offset1:119
	;; [unrolled: 1-line block ×4, first 2 shown]
	ds_store_b32 v65, v23 offset:816
	v_add_nc_u32_e32 v0, 0x200, v48
	global_wb scope:SCOPE_SE
	s_wait_dscnt 0x0
	s_barrier_signal -1
	s_barrier_wait -1
	global_inv scope:SCOPE_SE
	ds_load_2addr_b32 v[31:32], v48 offset1:85
	ds_load_2addr_b32 v[39:40], v0 offset0:93 offset1:178
	ds_load_2addr_b32 v[37:38], v16 offset0:58 offset1:143
	;; [unrolled: 1-line block ×4, first 2 shown]
	s_and_saveexec_b32 s1, s0
	s_cbranch_execz .LBB0_9
; %bb.8:
	v_add_nc_u32_e32 v0, 0x280, v48
	v_add_nc_u32_e32 v1, 0x980, v48
	ds_load_2addr_b32 v[29:30], v0 offset0:10 offset1:231
	ds_load_2addr_b32 v[27:28], v1 offset0:4 offset1:225
	ds_load_b32 v25, v48 offset:4216
	s_wait_dscnt 0x2
	v_lshrrev_b32_e32 v81, 16, v29
	v_lshrrev_b32_e32 v80, 16, v30
	s_wait_dscnt 0x1
	v_lshrrev_b32_e32 v79, 16, v27
	v_lshrrev_b32_e32 v42, 16, v28
	s_wait_dscnt 0x0
	v_lshrrev_b32_e32 v41, 16, v25
.LBB0_9:
	s_wait_alu 0xfffe
	s_or_b32 exec_lo, exec_lo, s1
	v_lshlrev_b32_e32 v0, 4, v44
	s_wait_dscnt 0x3
	v_lshrrev_b32_e32 v66, 16, v39
	s_wait_dscnt 0x2
	v_lshrrev_b32_e32 v67, 16, v37
	;; [unrolled: 2-line block ×4, first 2 shown]
	global_load_b128 v[20:23], v0, s[2:3] offset:816
	v_add_nc_u32_e32 v0, 0x550, v0
	v_lshrrev_b32_e32 v84, 16, v40
	v_lshrrev_b32_e32 v85, 16, v38
	;; [unrolled: 1-line block ×4, first 2 shown]
	global_load_b128 v[16:19], v0, s[2:3] offset:816
	v_add_co_u32 v0, s1, 0xaa, v44
	s_wait_alu 0xf1ff
	v_add_co_ci_u32_e64 v1, null, 0, 0, s1
	v_add_co_u32 v2, s1, 0xffffffcd, v44
	s_wait_alu 0xf1ff
	v_add_co_ci_u32_e64 v3, null, 0, -1, s1
	v_lshrrev_b32_e32 v83, 16, v31
	s_delay_alu instid0(VALU_DEP_3) | instskip(SKIP_1) | instid1(VALU_DEP_4)
	v_cndmask_b32_e64 v0, v2, v0, s0
	v_lshrrev_b32_e32 v82, 16, v32
	v_cndmask_b32_e64 v1, v3, v1, s0
	v_lshl_add_u32 v55, v44, 2, v46
	v_add_nc_u32_e32 v78, v43, v46
	s_delay_alu instid0(VALU_DEP_3) | instskip(NEXT) | instid1(VALU_DEP_3)
	v_lshlrev_b64_e32 v[0:1], 4, v[0:1]
	v_add_nc_u32_e32 v96, 0x300, v55
	v_add_nc_u32_e32 v97, 0xa00, v55
	s_delay_alu instid0(VALU_DEP_4)
	v_add_nc_u32_e32 v98, 0x480, v78
	v_add_nc_u32_e32 v99, 0xb80, v78
	v_add_co_u32 v0, s1, s2, v0
	s_wait_alu 0xf1ff
	v_add_co_ci_u32_e64 v1, s1, s3, v1, s1
	global_load_b128 v[0:3], v[0:1], off offset:816
	s_wait_loadcnt 0x2
	v_lshrrev_b32_e32 v77, 16, v20
	v_lshrrev_b32_e32 v76, 16, v21
	;; [unrolled: 1-line block ×4, first 2 shown]
	s_delay_alu instid0(VALU_DEP_4)
	v_mul_f16_e32 v88, v66, v77
	v_mul_f16_e32 v89, v39, v77
	;; [unrolled: 1-line block ×8, first 2 shown]
	s_wait_loadcnt 0x1
	v_lshrrev_b32_e32 v74, 16, v16
	v_lshrrev_b32_e32 v73, 16, v17
	;; [unrolled: 1-line block ×4, first 2 shown]
	v_fma_f16 v39, v39, v20, -v88
	v_fmac_f16_e32 v89, v66, v20
	v_fma_f16 v37, v37, v21, -v90
	v_fmac_f16_e32 v91, v67, v21
	;; [unrolled: 2-line block ×4, first 2 shown]
	v_mul_f16_e32 v33, v84, v74
	v_mul_f16_e32 v92, v40, v74
	;; [unrolled: 1-line block ×8, first 2 shown]
	v_fma_f16 v33, v40, v16, -v33
	v_fmac_f16_e32 v92, v84, v16
	v_fma_f16 v38, v38, v17, -v35
	v_fmac_f16_e32 v94, v85, v17
	;; [unrolled: 2-line block ×4, first 2 shown]
	v_add_f16_e32 v34, v31, v39
	v_sub_f16_e32 v40, v89, v95
	v_sub_f16_e32 v85, v39, v37
	;; [unrolled: 1-line block ×5, first 2 shown]
	v_add_f16_e32 v105, v83, v89
	v_add_f16_e32 v106, v91, v93
	v_sub_f16_e32 v108, v89, v91
	v_add_f16_e32 v110, v89, v95
	v_sub_f16_e32 v89, v91, v89
	v_sub_f16_e32 v111, v93, v95
	s_wait_loadcnt 0x0
	v_lshrrev_b32_e32 v66, 16, v0
	v_lshrrev_b32_e32 v69, 16, v1
	;; [unrolled: 1-line block ×4, first 2 shown]
	v_add_f16_e32 v35, v37, v88
	v_add_f16_e32 v87, v39, v90
	v_sub_f16_e32 v39, v39, v90
	v_sub_f16_e32 v107, v37, v88
	;; [unrolled: 1-line block ×3, first 2 shown]
	v_add_f16_e32 v37, v34, v37
	v_add_f16_e32 v112, v85, v86
	;; [unrolled: 1-line block ×4, first 2 shown]
	v_fma_f16 v85, -0.5, v106, v83
	v_add_f16_e32 v104, v89, v111
	v_add_f16_e32 v89, v32, v33
	;; [unrolled: 1-line block ×3, first 2 shown]
	v_sub_f16_e32 v106, v92, v101
	v_add_f16_e32 v111, v33, v102
	v_add_f16_e32 v115, v82, v92
	v_sub_f16_e32 v119, v92, v94
	v_add_f16_e32 v121, v92, v101
	v_sub_f16_e32 v92, v94, v92
	v_sub_f16_e32 v122, v100, v101
	v_mul_f16_e32 v123, v80, v66
	v_mul_f16_e32 v124, v30, v66
	v_mul_f16_e32 v125, v79, v69
	v_mul_f16_e32 v126, v27, v69
	v_mul_f16_e32 v127, v42, v68
	v_mul_f16_e64 v128, v28, v68
	v_mul_f16_e64 v129, v41, v67
	;; [unrolled: 1-line block ×3, first 2 shown]
	v_sub_f16_e32 v84, v91, v93
	v_fma_f16 v35, -0.5, v35, v31
	v_fma_f16 v34, -0.5, v87, v31
	v_add_f16_e32 v91, v108, v109
	v_sub_f16_e32 v108, v94, v100
	v_sub_f16_e32 v109, v33, v38
	;; [unrolled: 1-line block ×3, first 2 shown]
	v_add_f16_e32 v116, v94, v100
	v_sub_f16_e32 v118, v38, v36
	v_add_f16_e32 v37, v37, v88
	v_fmamk_f16 v88, v39, 0xbb9c, v85
	v_fmac_f16_e32 v85, 0x3b9c, v39
	v_add_f16_e32 v89, v89, v38
	v_fma_f16 v38, -0.5, v105, v32
	v_fmac_f16_e32 v32, -0.5, v111
	v_add_f16_e32 v94, v115, v94
	v_add_f16_e32 v111, v92, v122
	v_fma_f16 v92, v30, v0, -v123
	v_fmac_f16_e32 v124, v80, v0
	v_fma_f16 v27, v27, v1, -v125
	v_fmac_f16_e32 v126, v79, v1
	v_fma_f16 v28, v28, v2, -v127
	v_fmac_f16_e64 v128, v42, v2
	v_fma_f16 v79, v25, v3, -v129
	v_fmac_f16_e64 v130, v41, v3
	v_fmac_f16_e32 v83, -0.5, v110
	v_sub_f16_e32 v110, v102, v36
	v_sub_f16_e32 v114, v36, v102
	;; [unrolled: 1-line block ×4, first 2 shown]
	v_fmamk_f16 v31, v40, 0x3b9c, v35
	v_fmac_f16_e32 v35, 0xbb9c, v40
	v_fmamk_f16 v33, v84, 0xbb9c, v34
	v_fmac_f16_e32 v34, 0x3b9c, v84
	v_add_f16_e32 v93, v86, v93
	v_add_f16_e32 v30, v37, v90
	v_fmac_f16_e32 v88, 0xb8b4, v107
	v_fmac_f16_e32 v85, 0x38b4, v107
	v_add_f16_e32 v25, v89, v36
	v_add_f16_e32 v37, v94, v100
	;; [unrolled: 1-line block ×5, first 2 shown]
	v_add_f16_e64 v115, v126, v128
	v_add_f16_e64 v122, v124, v130
	v_fmamk_f16 v87, v107, 0x3b9c, v83
	v_fmac_f16_e32 v83, 0xbb9c, v107
	v_fma_f16 v86, -0.5, v116, v82
	v_fmac_f16_e32 v82, -0.5, v121
	v_add_f16_e32 v105, v109, v110
	v_add_f16_e32 v109, v113, v114
	;; [unrolled: 1-line block ×3, first 2 shown]
	v_fmac_f16_e32 v31, 0x38b4, v84
	v_fmac_f16_e32 v35, 0xb8b4, v84
	;; [unrolled: 1-line block ×4, first 2 shown]
	v_add_f16_e32 v84, v93, v95
	v_fmamk_f16 v40, v108, 0xbb9c, v32
	v_fmac_f16_e32 v32, 0x3b9c, v108
	v_sub_f16_e64 v80, v124, v130
	v_sub_f16_e64 v95, v126, v128
	v_sub_f16_e32 v93, v92, v27
	v_sub_f16_e32 v94, v79, v28
	v_sub_f16_e32 v107, v27, v92
	v_add_f16_e32 v114, v81, v124
	v_sub_f16_e32 v116, v92, v79
	v_sub_f16_e32 v119, v27, v28
	v_fmac_f16_e32 v88, 0x34f2, v91
	v_fmac_f16_e32 v85, 0x34f2, v91
	v_add_f16_e32 v36, v25, v102
	v_add_f16_e32 v27, v41, v27
	v_fma_f16 v25, -0.5, v42, v29
	v_fmac_f16_e32 v29, -0.5, v100
	v_fma_f16 v91, -0.5, v115, v81
	v_fmac_f16_e32 v81, -0.5, v122
	v_fmac_f16_e32 v87, 0xb8b4, v39
	v_fmac_f16_e32 v83, 0x38b4, v39
	v_fmamk_f16 v39, v106, 0x3b9c, v38
	v_fmamk_f16 v90, v117, 0xbb9c, v86
	;; [unrolled: 1-line block ×3, first 2 shown]
	v_fmac_f16_e32 v38, 0xbb9c, v106
	v_fmac_f16_e32 v86, 0x3b9c, v117
	;; [unrolled: 1-line block ×3, first 2 shown]
	v_sub_f16_e32 v113, v28, v79
	v_sub_f16_e32 v120, v124, v126
	v_sub_f16_e64 v121, v130, v128
	v_sub_f16_e32 v123, v126, v124
	v_sub_f16_e64 v124, v128, v130
	v_fmac_f16_e32 v40, 0x38b4, v106
	v_fmac_f16_e32 v32, 0xb8b4, v106
	v_add_f16_e32 v92, v37, v101
	v_add_f16_e32 v101, v93, v94
	;; [unrolled: 1-line block ×4, first 2 shown]
	v_fmamk_f16 v42, v80, 0x3b9c, v25
	v_fmac_f16_e32 v25, 0xbb9c, v80
	v_fmamk_f16 v28, v95, 0xbb9c, v29
	v_fmac_f16_e32 v29, 0x3b9c, v95
	;; [unrolled: 2-line block ×4, first 2 shown]
	v_fmac_f16_e32 v39, 0x38b4, v108
	v_fmac_f16_e32 v90, 0xb8b4, v118
	;; [unrolled: 1-line block ×10, first 2 shown]
	v_add_f16_e32 v100, v107, v113
	v_add_f16_e32 v102, v120, v121
	;; [unrolled: 1-line block ×3, first 2 shown]
	v_fmac_f16_e32 v40, 0x34f2, v109
	v_fmac_f16_e32 v32, 0x34f2, v109
	v_add_f16_e64 v109, v41, v128
	v_fmac_f16_e32 v42, 0x38b4, v95
	v_fmac_f16_e32 v25, 0xb8b4, v95
	;; [unrolled: 1-line block ×16, first 2 shown]
	v_pack_b32_f16 v104, v31, v88
	v_pack_b32_f16 v105, v33, v87
	v_add_f16_e32 v41, v27, v79
	v_add_f16_e64 v95, v109, v130
	v_fmac_f16_e32 v42, 0x34f2, v101
	v_fmac_f16_e32 v25, 0x34f2, v101
	;; [unrolled: 1-line block ×8, first 2 shown]
	v_pack_b32_f16 v106, v34, v83
	v_pack_b32_f16 v107, v35, v85
	;; [unrolled: 1-line block ×8, first 2 shown]
	ds_store_2addr_b32 v96, v104, v105 offset0:29 offset1:250
	ds_store_2addr_b32 v97, v106, v107 offset0:23 offset1:244
	ds_store_2addr_b32 v55, v37, v108 offset1:85
	ds_store_2addr_b32 v98, v110, v111 offset0:18 offset1:239
	ds_store_2addr_b32 v99, v112, v113 offset0:12 offset1:233
	s_and_saveexec_b32 s1, s0
	s_cbranch_execz .LBB0_11
; %bb.10:
	v_perm_b32 v27, v95, v41, 0x5040100
	v_perm_b32 v37, v94, v42, 0x5040100
	v_add_nc_u32_e32 v79, 0x280, v55
	v_perm_b32 v80, v93, v28, 0x5040100
	v_perm_b32 v96, v81, v29, 0x5040100
	v_add_nc_u32_e32 v97, 0x980, v55
	v_perm_b32 v98, v91, v25, 0x5040100
	ds_store_2addr_b32 v79, v27, v37 offset0:10 offset1:231
	ds_store_2addr_b32 v97, v80, v96 offset0:4 offset1:225
	ds_store_b32 v55, v98 offset:4216
.LBB0_11:
	s_wait_alu 0xfffe
	s_or_b32 exec_lo, exec_lo, s1
	global_wb scope:SCOPE_SE
	s_wait_dscnt 0x0
	s_barrier_signal -1
	s_barrier_wait -1
	global_inv scope:SCOPE_SE
	s_and_saveexec_b32 s1, vcc_lo
	s_cbranch_execz .LBB0_13
; %bb.12:
	s_add_nc_u64 s[2:3], s[8:9], 0x1144
	s_clause 0x10
	global_load_b32 v27, v43, s[8:9] offset:4420
	global_load_b32 v37, v43, s[2:3] offset:260
	;; [unrolled: 1-line block ×17, first 2 shown]
	v_add_nc_u32_e32 v125, 0x400, v55
	ds_load_2addr_b32 v[79:80], v55 offset1:65
	v_add_nc_u32_e32 v126, 0x800, v55
	ds_load_2addr_b32 v[96:97], v55 offset0:130 offset1:195
	v_add_nc_u32_e32 v128, 0xc00, v55
	ds_load_b32 v127, v55 offset:4160
	ds_load_2addr_b32 v[98:99], v125 offset0:4 offset1:69
	ds_load_2addr_b32 v[100:101], v125 offset0:134 offset1:199
	;; [unrolled: 1-line block ×6, first 2 shown]
	s_wait_dscnt 0x8
	v_lshrrev_b32_e32 v129, 16, v79
	v_lshrrev_b32_e32 v130, 16, v80
	s_wait_dscnt 0x7
	v_lshrrev_b32_e32 v131, 16, v96
	v_lshrrev_b32_e32 v132, 16, v97
	;; [unrolled: 3-line block ×5, first 2 shown]
	v_lshrrev_b32_e32 v133, 16, v127
	s_wait_dscnt 0x2
	v_lshrrev_b32_e32 v140, 16, v104
	v_lshrrev_b32_e32 v141, 16, v105
	s_wait_dscnt 0x1
	v_lshrrev_b32_e32 v142, 16, v106
	;; [unrolled: 3-line block ×3, first 2 shown]
	v_lshrrev_b32_e32 v145, 16, v109
	s_wait_loadcnt 0x10
	v_lshrrev_b32_e32 v146, 16, v27
	s_wait_loadcnt 0xf
	;; [unrolled: 2-line block ×17, first 2 shown]
	v_lshrrev_b32_e32 v162, 16, v124
	v_mul_f16_e64 v163, v129, v146
	v_mul_f16_e64 v146, v79, v146
	;; [unrolled: 1-line block ×34, first 2 shown]
	v_fma_f16 v79, v79, v27, -v163
	v_fmac_f16_e64 v146, v129, v27
	v_fma_f16 v27, v80, v37, -v164
	v_fmac_f16_e64 v147, v130, v37
	v_fma_f16 v37, v96, v110, -v165
	v_fmac_f16_e64 v148, v131, v110
	v_fma_f16 v80, v97, v111, -v166
	v_fmac_f16_e64 v149, v132, v111
	v_fma_f16 v96, v98, v112, -v167
	v_fmac_f16_e64 v150, v134, v112
	v_fma_f16 v97, v99, v113, -v168
	v_fmac_f16_e64 v151, v135, v113
	v_fma_f16 v98, v100, v114, -v169
	v_fmac_f16_e64 v152, v136, v114
	v_fma_f16 v99, v101, v115, -v170
	v_fmac_f16_e64 v153, v137, v115
	v_fma_f16 v100, v102, v116, -v171
	v_fmac_f16_e64 v154, v138, v116
	v_fma_f16 v101, v103, v117, -v172
	v_fmac_f16_e64 v155, v139, v117
	v_fma_f16 v102, v104, v118, -v173
	v_fmac_f16_e64 v156, v140, v118
	v_fma_f16 v103, v105, v119, -v174
	v_fmac_f16_e64 v157, v141, v119
	v_fma_f16 v104, v106, v120, -v175
	v_fmac_f16_e64 v158, v142, v120
	v_fma_f16 v105, v107, v121, -v176
	v_fmac_f16_e64 v159, v143, v121
	v_fma_f16 v106, v108, v122, -v177
	v_fmac_f16_e64 v160, v144, v122
	v_fma_f16 v107, v109, v123, -v178
	v_fmac_f16_e64 v161, v145, v123
	v_fma_f16 v108, v127, v124, -v179
	v_fmac_f16_e64 v162, v133, v124
	v_pack_b32_f16 v79, v79, v146
	v_pack_b32_f16 v27, v27, v147
	;; [unrolled: 1-line block ×17, first 2 shown]
	ds_store_2addr_b32 v55, v79, v27 offset1:65
	ds_store_2addr_b32 v55, v37, v80 offset0:130 offset1:195
	ds_store_2addr_b32 v125, v96, v97 offset0:4 offset1:69
	;; [unrolled: 1-line block ×7, first 2 shown]
	ds_store_b32 v55, v108 offset:4160
.LBB0_13:
	s_wait_alu 0xfffe
	s_or_b32 exec_lo, exec_lo, s1
	global_wb scope:SCOPE_SE
	s_wait_dscnt 0x0
	s_barrier_signal -1
	s_barrier_wait -1
	global_inv scope:SCOPE_SE
	s_and_saveexec_b32 s1, vcc_lo
	s_cbranch_execz .LBB0_15
; %bb.14:
	v_add_nc_u32_e32 v25, 0x400, v55
	v_add_nc_u32_e32 v26, 0x800, v55
	ds_load_2addr_b32 v[30:31], v55 offset1:65
	ds_load_2addr_b32 v[33:34], v55 offset0:130 offset1:195
	ds_load_2addr_b32 v[35:36], v25 offset0:4 offset1:69
	;; [unrolled: 1-line block ×3, first 2 shown]
	v_add_nc_u32_e32 v25, 0xc00, v55
	ds_load_2addr_b32 v[37:38], v26 offset0:8 offset1:73
	ds_load_2addr_b32 v[41:42], v26 offset0:138 offset1:203
	;; [unrolled: 1-line block ×4, first 2 shown]
	ds_load_b32 v49, v55 offset:4160
	s_wait_dscnt 0x8
	v_lshrrev_b32_e32 v84, 16, v30
	v_lshrrev_b32_e32 v88, 16, v31
	s_wait_dscnt 0x7
	v_lshrrev_b32_e32 v87, 16, v33
	v_lshrrev_b32_e32 v83, 16, v34
	s_wait_dscnt 0x4
	v_mov_b32_e32 v32, v37
	v_lshrrev_b32_e32 v85, 16, v35
	v_lshrrev_b32_e32 v92, 16, v36
	;; [unrolled: 1-line block ×6, first 2 shown]
	s_wait_dscnt 0x3
	v_lshrrev_b32_e32 v95, 16, v41
	v_lshrrev_b32_e32 v94, 16, v42
	s_wait_dscnt 0x2
	v_lshrrev_b32_e32 v93, 16, v28
	v_lshrrev_b32_e32 v81, 16, v29
	;; [unrolled: 3-line block ×3, first 2 shown]
	s_wait_dscnt 0x0
	v_lshrrev_b32_e32 v51, 16, v49
.LBB0_15:
	s_wait_alu 0xfffe
	s_or_b32 exec_lo, exec_lo, s1
	s_delay_alu instid0(VALU_DEP_1)
	v_sub_f16_e32 v115, v88, v51
	v_add_f16_e32 v122, v51, v88
	v_add_f16_e32 v96, v49, v31
	v_sub_f16_e32 v98, v31, v49
	v_add_f16_e32 v124, v50, v87
	v_mul_f16_e64 v153, 0xbb29, v115
	v_mul_f16_e64 v177, 0x3722, v122
	v_sub_f16_e32 v116, v87, v50
	v_add_f16_e32 v97, v26, v33
	v_mul_f16_e64 v146, 0xbbf7, v115
	v_fma_f16 v27, v96, 0x3722, -v153
	v_fma_f16 v37, 0xbb29, v98, v177
	v_mul_f16_e64 v137, 0x2de8, v122
	v_mul_f16_e64 v164, 0xba62, v116
	v_sub_f16_e32 v100, v33, v26
	v_mul_f16_e64 v193, 0xb8d2, v124
	v_add_f16_e32 v27, v30, v27
	v_add_f16_e32 v37, v84, v37
	v_fma_f16 v79, v96, 0x2de8, -v146
	v_fma_f16 v80, 0xbbf7, v98, v137
	v_fma_f16 v99, v97, 0xb8d2, -v164
	v_sub_f16_e32 v117, v83, v91
	v_fma_f16 v101, 0xba62, v100, v193
	v_mul_f16_e64 v208, 0xb1e1, v116
	v_mul_f16_e64 v187, 0xbbdd, v124
	v_add_f16_e64 v129, v91, v83
	v_add_f16_e32 v79, v30, v79
	v_add_f16_e32 v80, v84, v80
	v_add_f16_e32 v27, v99, v27
	v_add_f16_e32 v99, v25, v34
	v_mul_f16_e64 v185, 0x31e1, v117
	v_add_f16_e32 v37, v101, v37
	v_fma_f16 v102, v97, 0xbbdd, -v208
	v_fma_f16 v103, 0xb1e1, v100, v187
	v_sub_f16_e32 v101, v34, v25
	v_mul_f16_e64 v205, 0xbbdd, v129
	v_sub_f16_e32 v119, v85, v81
	v_fma_f16 v104, v99, 0xbbdd, -v185
	v_add_f16_e32 v79, v102, v79
	v_add_f16_e32 v80, v103, v80
	v_fma_f16 v103, 0x31e1, v101, v205
	v_mul_f16_e64 v213, 0x3bb2, v117
	v_mul_f16_e64 v204, 0xb461, v129
	v_add_f16_e32 v102, v29, v35
	v_mul_f16_e64 v196, 0x3bb2, v119
	v_add_f16_e32 v126, v81, v85
	v_add_f16_e32 v27, v104, v27
	;; [unrolled: 1-line block ×3, first 2 shown]
	v_fma_f16 v104, v99, 0xb461, -v213
	v_fma_f16 v105, 0x3bb2, v101, v204
	v_fma_f16 v106, v102, 0xb461, -v196
	v_sub_f16_e32 v103, v35, v29
	v_mul_f16_e64 v207, 0xb461, v126
	v_sub_f16_e32 v121, v92, v93
	v_mul_f16_e64 v215, 0x35c8, v119
	v_mul_f16_e64 v222, 0x3b76, v126
	v_add_f16_e32 v127, v93, v92
	v_add_f16_e32 v79, v104, v79
	;; [unrolled: 1-line block ×4, first 2 shown]
	v_fma_f16 v106, 0x3bb2, v103, v207
	v_add_f16_e32 v104, v28, v36
	v_mul_f16_e64 v206, 0x3964, v121
	v_fma_f16 v107, v102, 0x3b76, -v215
	v_fma_f16 v108, 0x35c8, v103, v222
	v_sub_f16_e32 v105, v36, v28
	v_mul_f16_e64 v210, 0x39e9, v127
	v_add_f16_e64 v130, v94, v90
	v_fma_f16 v109, v104, 0x39e9, -v206
	v_add_f16_e32 v37, v106, v37
	v_add_f16_e32 v79, v107, v79
	v_add_f16_e32 v80, v108, v80
	v_fma_f16 v108, 0x3964, v105, v210
	v_sub_f16_e32 v123, v90, v94
	v_mul_f16_e64 v219, 0xbb29, v121
	v_mul_f16_e64 v224, 0x3722, v127
	v_sub_f16_e32 v107, v39, v42
	v_mul_f16_e64 v214, 0x3b76, v130
	v_add_f16_e32 v27, v109, v27
	v_add_f16_e32 v106, v42, v39
	v_mul_f16_e64 v209, 0xb5c8, v123
	v_fma_f16 v109, v104, 0x3722, -v219
	v_fma_f16 v110, 0xbb29, v105, v224
	v_add_f16_e32 v37, v108, v37
	v_fma_f16 v108, 0xb5c8, v107, v214
	v_mul_f16_e64 v217, 0xb836, v123
	v_sub_f16_e64 v128, v89, v95
	v_add_f16_e64 v131, v95, v89
	v_fma_f16 v111, v106, 0x3b76, -v209
	v_add_f16_e32 v79, v109, v79
	v_add_f16_e32 v80, v110, v80
	;; [unrolled: 1-line block ×3, first 2 shown]
	v_mul_f16_e64 v225, 0xbacd, v130
	v_fma_f16 v110, v106, 0xbacd, -v217
	v_add_f16_e32 v108, v41, v40
	v_mul_f16_e64 v211, 0xbbf7, v128
	v_sub_f16_e32 v109, v40, v41
	v_mul_f16_e64 v216, 0x2de8, v131
	v_add_f16_e32 v27, v111, v27
	v_mul_f16_e64 v220, 0x3a62, v128
	v_fma_f16 v111, 0xb836, v107, v225
	v_fma_f16 v112, v108, 0x2de8, -v211
	v_add_f16_e32 v79, v110, v79
	v_fma_f16 v110, 0xbbf7, v109, v216
	v_mul_f16_e64 v226, 0xb8d2, v131
	v_sub_f16_e64 v132, v82, v86
	v_add_f16_e64 v133, v86, v82
	v_fma_f16 v113, v108, 0xb8d2, -v220
	v_add_f16_e32 v80, v111, v80
	v_add_f16_e32 v27, v112, v27
	;; [unrolled: 1-line block ×3, first 2 shown]
	v_fma_f16 v37, 0x3a62, v109, v226
	v_add_f16_e32 v110, v38, v32
	v_sub_f16_e32 v111, v32, v38
	v_mul_f16_e64 v212, 0xb836, v132
	v_mul_f16_e64 v218, 0xbacd, v133
	;; [unrolled: 1-line block ×4, first 2 shown]
	v_add_f16_e32 v113, v113, v79
	v_add_f16_e32 v80, v37, v80
	v_fma_f16 v37, v110, 0xbacd, -v212
	v_fma_f16 v79, 0xb836, v111, v218
	v_fma_f16 v114, v110, 0x39e9, -v221
	v_fma_f16 v118, 0x3964, v111, v223
	global_wb scope:SCOPE_SE
	v_add_f16_e32 v37, v37, v27
	v_add_f16_e32 v79, v79, v112
	;; [unrolled: 1-line block ×4, first 2 shown]
	s_barrier_signal -1
	s_barrier_wait -1
	global_inv scope:SCOPE_SE
	s_and_saveexec_b32 s1, vcc_lo
	s_cbranch_execz .LBB0_17
; %bb.16:
	v_mul_f16_e64 v138, 0xbbdd, v122
	v_mul_f16_e64 v136, 0x3b76, v124
	v_mul_f16_e64 v134, 0xbacd, v129
	v_mul_f16_e64 v135, 0x39e9, v126
	v_mul_f16_e64 v157, 0xb1e1, v115
	v_fma_f16 v112, 0x31e1, v98, v138
	v_fma_f16 v113, 0xb5c8, v100, v136
	;; [unrolled: 1-line block ×3, first 2 shown]
	v_mul_f16_e64 v139, 0xb8d2, v127
	v_mul_f16_e64 v158, 0x35c8, v116
	v_add_f16_e32 v112, v84, v112
	v_mul_f16_e64 v140, 0x3722, v130
	v_mul_f16_e64 v147, 0xb836, v117
	;; [unrolled: 1-line block ×3, first 2 shown]
	v_fma_f16 v118, 0x3b76, v97, v158
	v_add_f16_e32 v112, v113, v112
	v_fma_f16 v113, 0xb964, v103, v135
	v_mul_f16_e64 v148, 0x3964, v119
	v_mul_f16_e64 v149, 0xba62, v121
	;; [unrolled: 1-line block ×3, first 2 shown]
	v_add_f16_e32 v112, v114, v112
	v_fma_f16 v114, 0xbbdd, v96, v157
	v_mul_f16_e64 v142, 0x2de8, v133
	v_mul_f16_e64 v155, 0x3b29, v123
	v_fma_f16 v120, 0x3836, v98, v170
	v_add_f16_e32 v112, v113, v112
	v_fma_f16 v113, 0x3a62, v105, v139
	v_add_f16_e32 v114, v30, v114
	v_mul_f16_e64 v171, 0x3722, v124
	v_mul_f16_e64 v156, 0xbbb2, v128
	v_add_f16_e32 v120, v84, v120
	v_add_f16_e32 v112, v113, v112
	v_fma_f16 v113, 0xbb29, v107, v140
	v_add_f16_e32 v114, v118, v114
	v_fma_f16 v118, 0xbacd, v99, v147
	v_fma_f16 v125, 0xbb29, v100, v171
	v_mul_f16_e64 v172, 0x2de8, v129
	v_add_f16_e32 v112, v113, v112
	v_fma_f16 v113, 0x3bb2, v109, v141
	v_add_f16_e32 v114, v118, v114
	v_fma_f16 v118, 0x39e9, v102, v148
	v_mul_f16_e64 v173, 0xb8d2, v126
	v_mul_f16_e64 v165, 0xb836, v115
	v_add_f16_e32 v112, v113, v112
	v_mul_f16_e64 v180, 0x3b76, v127
	v_add_f16_e32 v113, v118, v114
	v_fma_f16 v114, 0xb8d2, v104, v149
	v_fma_f16 v118, 0xbbf7, v111, v142
	v_mul_f16_e64 v152, 0x3b29, v116
	v_mul_f16_e64 v159, 0x3bf7, v132
	;; [unrolled: 1-line block ×3, first 2 shown]
	v_add_f16_e32 v113, v114, v113
	v_fma_f16 v114, 0x3722, v106, v155
	v_add_f16_e32 v112, v118, v112
	v_add_f16_e32 v118, v125, v120
	v_fma_f16 v120, 0x3bf7, v101, v172
	v_fma_f16 v125, 0xbacd, v96, v165
	v_add_f16_e32 v113, v114, v113
	v_fma_f16 v114, 0xb461, v108, v156
	v_fma_f16 v144, 0x3722, v97, v152
	v_mul_f16_e64 v143, 0xbbf7, v117
	v_add_f16_e32 v125, v30, v125
	v_mul_f16_e64 v163, 0x39e9, v131
	v_add_f16_e32 v113, v114, v113
	v_add_f16_e32 v114, v120, v118
	v_fma_f16 v118, 0xba62, v103, v173
	v_fma_f16 v120, 0x2de8, v110, v159
	v_add_f16_e64 v125, v144, v125
	v_fma_f16 v145, 0x2de8, v99, v143
	v_mul_f16_e64 v144, 0x3a62, v119
	v_add_f16_e32 v114, v118, v114
	v_fma_f16 v118, 0x35c8, v105, v180
	v_add_f16_e32 v113, v120, v113
	v_add_f16_e64 v120, v145, v125
	v_fma_f16 v125, 0xb8d2, v102, v144
	v_mul_f16_e64 v145, 0xb5c8, v121
	v_add_f16_e32 v114, v118, v114
	v_fma_f16 v118, 0x31e1, v107, v181
	v_mul_f16_e64 v183, 0xb8d2, v122
	v_mul_f16_e64 v169, 0xb461, v133
	;; [unrolled: 1-line block ×4, first 2 shown]
	v_add_f16_e32 v114, v118, v114
	v_fma_f16 v118, 0xb964, v109, v163
	v_fma_f16 v154, 0x3a62, v98, v183
	v_mul_f16_e64 v151, 0x3964, v128
	v_fma_f16 v160, 0xbbb2, v100, v166
	v_mul_f16_e64 v167, 0x3b76, v129
	v_add_f16_e32 v114, v118, v114
	v_add_f16_e32 v118, v125, v120
	v_fma_f16 v120, 0x3b76, v104, v145
	v_fma_f16 v125, 0x3bb2, v111, v169
	v_add_f16_e64 v154, v84, v154
	v_mul_f16_e64 v168, 0xbacd, v126
	v_mul_f16_e64 v188, 0xba62, v115
	v_add_f16_e32 v118, v120, v118
	v_fma_f16 v120, 0xbbdd, v106, v150
	v_add_f16_e32 v114, v125, v114
	v_add_f16_e64 v125, v160, v154
	v_fma_f16 v160, 0x35c8, v101, v167
	v_mul_f16_e64 v178, 0x2de8, v127
	v_add_f16_e32 v118, v120, v118
	v_fma_f16 v120, 0x39e9, v108, v151
	v_fma_f16 v161, 0xb8d2, v96, v188
	v_mul_f16_e64 v189, 0x3bb2, v116
	v_mul_f16_e64 v154, 0xbbb2, v132
	;; [unrolled: 1-line block ×3, first 2 shown]
	v_add_f16_e32 v118, v120, v118
	v_add_f16_e64 v120, v160, v125
	v_fma_f16 v125, 0x3836, v103, v168
	v_add_f16_e64 v161, v30, v161
	v_fma_f16 v162, 0xb461, v97, v189
	v_mul_f16_e64 v192, 0xb5c8, v117
	v_fma_f16 v160, 0xb461, v110, v154
	v_add_f16_e32 v120, v125, v120
	v_fma_f16 v125, 0xbbf7, v105, v178
	v_mul_f16_e64 v182, 0xbbdd, v131
	v_add_f16_e64 v161, v162, v161
	v_fma_f16 v162, 0x3b76, v99, v192
	v_mul_f16_e64 v194, 0xb836, v119
	v_add_f16_e32 v120, v125, v120
	v_fma_f16 v125, 0x3964, v107, v179
	v_add_f16_e64 v118, v160, v118
	v_add_f16_e64 v160, v162, v161
	v_fma_f16 v161, 0xbacd, v102, v194
	v_mul_f16_e64 v195, 0x3bf7, v121
	v_add_f16_e32 v120, v125, v120
	v_fma_f16 v125, 0x31e1, v109, v182
	v_mul_f16_e64 v174, 0xb461, v122
	v_mul_f16_e64 v184, 0x3722, v133
	v_mul_f16_e64 v200, 0xb964, v123
	v_mul_f16_e64 v201, 0xb1e1, v128
	v_add_f16_e32 v120, v125, v120
	v_add_f16_e64 v125, v161, v160
	v_fma_f16 v161, 0x2de8, v104, v195
	v_fma_f16 v175, 0x3bb2, v98, v174
	v_mul_f16_e64 v160, 0xbacd, v124
	v_fma_f16 v162, 0xbb29, v111, v184
	v_fma_f16 v176, 0x39e9, v106, v200
	v_add_f16_e64 v125, v161, v125
	v_add_f16_e64 v175, v84, v175
	v_fma_f16 v190, 0xb836, v100, v160
	v_mul_f16_e64 v161, 0x39e9, v129
	v_add_f16_e64 v120, v162, v120
	v_add_f16_e64 v125, v176, v125
	v_fma_f16 v176, 0xbbdd, v108, v201
	v_add_f16_e64 v175, v190, v175
	v_fma_f16 v190, 0xb964, v101, v161
	v_mul_f16_e64 v162, 0x3722, v126
	v_mul_f16_e64 v198, 0xbbb2, v115
	v_add_f16_e64 v125, v176, v125
	v_mul_f16_e64 v197, 0x3b29, v132
	v_add_f16_e64 v176, v190, v175
	v_fma_f16 v190, 0x3b29, v103, v162
	v_mul_f16_e64 v175, 0xbbdd, v127
	v_fma_f16 v191, 0xb461, v96, v198
	v_mul_f16_e64 v199, 0x3836, v116
	v_fma_f16 v203, 0x3722, v110, v197
	v_add_f16_e64 v236, v190, v176
	v_fma_f16 v237, 0x31e1, v105, v175
	v_add_f16_e64 v191, v30, v191
	v_fma_f16 v238, 0xbacd, v97, v199
	v_mul_f16_e64 v190, 0x3964, v117
	v_mul_f16_e64 v186, 0xbbf7, v98
	;; [unrolled: 1-line block ×4, first 2 shown]
	v_add_f16_e64 v125, v203, v125
	v_mul_f16_e64 v176, 0x2de8, v130
	v_add_f16_e64 v203, v237, v236
	v_add_f16_e64 v236, v238, v191
	v_fma_f16 v237, 0x39e9, v99, v190
	v_mul_f16_e64 v191, 0xbb29, v119
	v_mul_f16_e64 v229, 0x2de8, v96
	v_fma_f16 v238, 0xbbf7, v107, v176
	v_sub_f16_e64 v137, v137, v186
	v_add_f16_e64 v236, v237, v236
	v_fma_f16 v237, 0x3722, v102, v191
	v_sub_f16_e64 v187, v187, v202
	v_mul_f16_e64 v202, 0xb1e1, v121
	v_sub_f16_e64 v204, v204, v235
	v_mul_f16_e64 v235, 0x35c8, v103
	v_add_f16_e32 v31, v31, v30
	v_mul_f16_e64 v232, 0xbbdd, v97
	v_mul_f16_e64 v186, 0x3b76, v131
	v_add_f16_e64 v137, v84, v137
	v_add_f16_e64 v238, v238, v203
	;; [unrolled: 1-line block ×3, first 2 shown]
	v_fma_f16 v237, 0xbbdd, v104, v202
	v_mul_f16_e64 v203, 0x3bf7, v123
	v_sub_f16_e64 v222, v222, v235
	v_mul_f16_e64 v235, 0xbb29, v105
	v_add_f16_e64 v146, v229, v146
	v_add_f16_e32 v31, v33, v31
	v_add_f16_e32 v33, v88, v84
	v_mul_f16_e64 v228, 0xbb29, v98
	v_fma_f16 v239, 0x35c8, v109, v186
	v_add_f16_e64 v137, v187, v137
	v_mul_f16_e64 v187, 0xb8d2, v133
	v_add_f16_e64 v236, v237, v236
	v_fma_f16 v237, 0x2de8, v106, v203
	v_sub_f16_e64 v224, v224, v235
	v_mul_f16_e64 v235, 0xb461, v99
	v_add_f16_e64 v232, v232, v208
	v_add_f16_e64 v146, v30, v146
	v_add_f16_e32 v31, v34, v31
	v_add_f16_e32 v33, v87, v33
	v_mul_f16_e64 v231, 0xba62, v100
	v_add_f16_e64 v238, v239, v238
	v_add_f16_e64 v137, v204, v137
	;; [unrolled: 1-line block ×3, first 2 shown]
	v_fma_f16 v237, 0x3a62, v111, v187
	v_mul_f16_e64 v229, 0x3b76, v102
	v_add_f16_e64 v232, v232, v146
	v_add_f16_e64 v213, v235, v213
	v_sub_f16_e64 v177, v177, v228
	v_add_f16_e32 v31, v35, v31
	v_add_f16_e32 v33, v83, v33
	v_mul_f16_e64 v227, 0x3722, v96
	v_mul_f16_e64 v234, 0x31e1, v101
	;; [unrolled: 1-line block ×3, first 2 shown]
	v_add_f16_e64 v222, v222, v137
	v_add_f16_e64 v137, v237, v238
	v_mul_f16_e64 v238, 0xb836, v107
	v_mul_f16_e64 v235, 0x3722, v104
	v_add_f16_e64 v213, v213, v232
	v_add_f16_e64 v215, v229, v215
	v_sub_f16_e64 v193, v193, v231
	v_add_f16_e64 v177, v84, v177
	v_add_f16_e32 v31, v36, v31
	v_add_f16_e32 v33, v85, v33
	v_mul_f16_e64 v230, 0xb8d2, v97
	v_fma_f16 v239, 0x3b76, v108, v204
	v_add_f16_e64 v222, v224, v222
	v_mul_f16_e64 v224, 0x3bb2, v103
	v_sub_f16_e64 v225, v225, v238
	v_mul_f16_e64 v238, 0x3a62, v109
	v_mul_f16_e64 v232, 0xbacd, v106
	v_add_f16_e64 v213, v215, v213
	v_add_f16_e64 v219, v235, v219
	;; [unrolled: 1-line block ×3, first 2 shown]
	v_sub_f16_e64 v205, v205, v234
	v_add_f16_e64 v153, v227, v153
	v_mul_f16_e32 v35, 0xb5c8, v115
	v_add_f16_e32 v31, v39, v31
	v_add_f16_e32 v33, v92, v33
	v_mul_f16_e64 v233, 0xbbdd, v99
	v_add_f16_e64 v236, v239, v236
	v_add_f16_e64 v222, v225, v222
	v_sub_f16_e64 v226, v226, v238
	v_mul_f16_e64 v239, 0x3964, v105
	v_mul_f16_e64 v231, 0xb8d2, v108
	;; [unrolled: 1-line block ×3, first 2 shown]
	v_add_f16_e64 v213, v219, v213
	v_add_f16_e64 v217, v232, v217
	;; [unrolled: 1-line block ×3, first 2 shown]
	v_sub_f16_e64 v205, v207, v224
	v_add_f16_e64 v153, v30, v153
	v_add_f16_e64 v164, v230, v164
	v_fmamk_f16 v36, v96, 0x3b76, v35
	v_mul_f16_e32 v85, 0xb964, v116
	v_add_f16_e32 v31, v40, v31
	v_add_f16_e32 v33, v90, v33
	v_mul_f16_e64 v237, 0xb461, v102
	v_mul_f16_e64 v208, 0xba62, v132
	v_add_f16_e64 v222, v226, v222
	v_mul_f16_e64 v226, 0xb5c8, v107
	v_mul_f16_e64 v193, 0x39e9, v110
	v_sub_f16_e64 v207, v223, v234
	v_add_f16_e64 v213, v217, v213
	v_add_f16_e64 v177, v205, v177
	v_sub_f16_e64 v205, v210, v239
	v_add_f16_e64 v210, v231, v220
	v_add_f16_e64 v164, v164, v153
	v_add_f16_e64 v185, v233, v185
	v_add_f16_e32 v36, v30, v36
	v_fmamk_f16 v39, v97, 0x39e9, v85
	v_mul_f16_e32 v92, 0xbb29, v117
	v_add_f16_e32 v31, v32, v31
	v_add_f16_e32 v32, v89, v33
	v_mul_f16_e64 v225, 0x39e9, v104
	v_fma_f16 v238, 0xb8d2, v110, v208
	v_mul_f16_e64 v229, 0xbbf7, v109
	v_add_f16_e64 v153, v207, v222
	v_add_f16_e64 v177, v205, v177
	v_sub_f16_e64 v205, v214, v226
	v_add_f16_e64 v207, v210, v213
	v_add_f16_e64 v164, v185, v164
	;; [unrolled: 1-line block ×4, first 2 shown]
	v_mul_f16_e64 v196, 0x39e9, v122
	v_add_f16_e32 v36, v39, v36
	v_fmamk_f16 v39, v99, 0x3722, v92
	v_mul_f16_e32 v33, 0xbbf7, v119
	v_add_f16_e32 v31, v38, v31
	v_add_f16_e32 v32, v82, v32
	v_add_f16_e64 v146, v238, v236
	v_mul_f16_e64 v236, 0x3b76, v106
	v_add_f16_e64 v177, v205, v177
	v_sub_f16_e64 v205, v216, v229
	v_add_f16_e64 v185, v185, v164
	v_add_f16_e64 v206, v225, v206
	;; [unrolled: 1-line block ×3, first 2 shown]
	v_fma_f16 v193, 0x3964, v98, v196
	v_mul_f16_e64 v207, 0x2de8, v124
	v_add_f16_e32 v36, v39, v36
	v_fmamk_f16 v38, v102, 0x2de8, v33
	v_mul_f16_e32 v39, 0xbbb2, v121
	v_add_f16_e32 v31, v41, v31
	v_add_f16_e32 v32, v86, v32
	v_mul_f16_e64 v228, 0x2de8, v108
	v_mul_f16_e64 v235, 0xb836, v111
	v_add_f16_e64 v177, v205, v177
	v_add_f16_e64 v185, v206, v185
	;; [unrolled: 1-line block ×4, first 2 shown]
	v_fma_f16 v206, 0x3bf7, v100, v207
	v_mul_f16_e64 v209, 0xb8d2, v129
	v_add_f16_e32 v36, v38, v36
	v_fmamk_f16 v38, v104, 0xb461, v39
	v_mul_f16_e32 v41, 0xba62, v123
	v_add_f16_e32 v31, v42, v31
	v_add_f16_e32 v32, v95, v32
	v_sub_f16_e64 v210, v218, v235
	v_add_f16_e64 v185, v205, v185
	v_add_f16_e64 v205, v228, v211
	;; [unrolled: 1-line block ×3, first 2 shown]
	v_fma_f16 v206, 0x3a62, v101, v209
	v_mul_f16_e64 v211, 0xbbdd, v126
	v_add_f16_e32 v36, v38, v36
	v_fmamk_f16 v38, v106, 0xb8d2, v41
	v_add_f16_e32 v28, v28, v31
	v_add_f16_e32 v31, v94, v32
	v_mul_f16_e64 v32, 0xb836, v128
	v_mul_f16_e64 v215, 0xbacd, v110
	v_add_f16_e64 v177, v210, v177
	v_add_f16_e64 v193, v206, v193
	v_fma_f16 v206, 0x31e1, v103, v211
	v_mul_f16_e64 v210, 0xbacd, v127
	v_add_f16_e32 v36, v38, v36
	v_add_f16_e32 v28, v29, v28
	;; [unrolled: 1-line block ×3, first 2 shown]
	v_fmamk_f16 v31, v108, 0xbacd, v32
	v_mul_f16_e64 v38, 0xb1e1, v132
	v_add_f16_e64 v212, v215, v212
	v_add_f16_e64 v193, v206, v193
	v_fma_f16 v206, 0xb836, v105, v210
	v_mul_f16_e64 v215, 0xb461, v130
	v_add_f16_e32 v25, v25, v28
	v_add_f16_e32 v28, v81, v29
	;; [unrolled: 1-line block ×3, first 2 shown]
	v_fmamk_f16 v31, v110, 0xbbdd, v38
	v_add_f16_e64 v193, v206, v193
	v_fma_f16 v206, 0xbbb2, v107, v215
	v_mul_f16_e64 v218, 0x3722, v131
	v_add_f16_e32 v25, v26, v25
	v_add_f16_e32 v26, v91, v28
	;; [unrolled: 1-line block ×3, first 2 shown]
	v_fma_f16 v29, v96, 0xbbdd, -v157
	v_add_f16_e64 v193, v206, v193
	v_fma_f16 v206, 0xbb29, v109, v218
	v_mul_f16_e32 v122, 0x3b76, v122
	v_fma_f16 v36, v97, 0x3b76, -v158
	v_add_f16_e32 v29, v30, v29
	v_fmac_f16_e64 v170, 0xb836, v98
	v_add_f16_e64 v206, v206, v193
	v_mul_f16_e64 v193, 0x3b76, v133
	v_fma_f16 v222, 0x35c8, v98, v122
	v_mul_f16_e32 v124, 0x39e9, v124
	v_add_f16_e32 v25, v49, v25
	v_add_f16_e32 v29, v36, v29
	v_fma_f16 v36, v99, 0xbacd, -v147
	v_add_f16_e64 v49, v84, v170
	v_fmac_f16_e64 v171, 0x3b29, v100
	v_fma_f16 v221, 0xb5c8, v111, v193
	v_add_f16_e64 v222, v84, v222
	v_fma_f16 v224, 0x3964, v100, v124
	v_mul_f16_e64 v129, 0x3722, v129
	v_add_f16_e32 v29, v36, v29
	v_fma_f16 v36, v102, 0x39e9, -v148
	v_add_f16_e64 v49, v171, v49
	v_fmac_f16_e64 v172, 0xbbf7, v101
	v_add_f16_e64 v206, v221, v206
	v_add_f16_e64 v221, v224, v222
	v_fma_f16 v222, 0x3b29, v101, v129
	v_mul_f16_e32 v126, 0x2de8, v126
	v_add_f16_e32 v29, v36, v29
	v_fma_f16 v36, v104, 0xb8d2, -v149
	v_add_f16_e64 v49, v172, v49
	v_fmac_f16_e64 v173, 0x3a62, v103
	v_add_f16_e64 v221, v222, v221
	v_fmamk_f16 v88, v103, 0x3bf7, v126
	v_mul_f16_e32 v127, 0xb461, v127
	v_add_f16_e32 v29, v36, v29
	v_fma_f16 v36, v106, 0x3722, -v155
	v_add_f16_e64 v49, v173, v49
	v_fmac_f16_e64 v180, 0xb5c8, v105
	v_add_f16_e64 v34, v88, v221
	v_fmamk_f16 v87, v105, 0x3bb2, v127
	v_mul_f16_e64 v83, 0xb8d2, v130
	v_add_f16_e32 v29, v36, v29
	v_fma_f16 v36, v108, 0xb461, -v156
	v_add_f16_e64 v49, v180, v49
	v_fmac_f16_e64 v181, 0xb1e1, v107
	v_add_f16_e32 v34, v87, v34
	v_fmamk_f16 v87, v107, 0x3a62, v83
	v_mul_f16_e64 v40, 0xbacd, v131
	v_add_f16_e32 v26, v50, v26
	v_add_f16_e32 v29, v36, v29
	v_fma_f16 v36, v110, 0x2de8, -v159
	v_add_f16_e64 v49, v181, v49
	v_fmac_f16_e64 v163, 0x3964, v109
	v_fma_f16 v50, v96, 0xbacd, -v165
	v_fmac_f16_e64 v183, 0xba62, v98
	v_add_f16_e32 v34, v87, v34
	v_fmamk_f16 v82, v109, 0x3836, v40
	v_mul_f16_e64 v42, 0xbbdd, v133
	v_add_f16_e32 v26, v51, v26
	v_add_f16_e32 v29, v36, v29
	v_add_f16_e64 v36, v163, v49
	v_add_f16_e32 v49, v30, v50
	v_fma_f16 v50, v97, 0x3722, -v152
	v_add_f16_e64 v51, v84, v183
	v_fmac_f16_e64 v166, 0x3bb2, v100
	v_add_f16_e32 v34, v82, v34
	v_fmamk_f16 v82, v111, 0x31e1, v42
	v_fma_f16 v81, v96, 0xb8d2, -v188
	v_add_f16_e32 v49, v50, v49
	v_fma_f16 v50, v99, 0x2de8, -v143
	v_add_f16_e64 v51, v166, v51
	v_fmac_f16_e64 v167, 0xb5c8, v101
	v_add_f16_e32 v34, v82, v34
	v_add_f16_e32 v81, v30, v81
	v_fma_f16 v82, v97, 0xb461, -v189
	v_add_f16_e32 v49, v50, v49
	v_fma_f16 v50, v102, 0xb8d2, -v144
	v_add_f16_e64 v51, v167, v51
	v_fmac_f16_e64 v168, 0xb836, v103
	v_add_f16_e32 v81, v82, v81
	v_fma_f16 v82, v99, 0x3b76, -v192
	v_add_f16_e32 v49, v50, v49
	v_fma_f16 v50, v104, 0x3b76, -v145
	v_add_f16_e64 v51, v168, v51
	v_fmac_f16_e64 v178, 0x3bf7, v105
	;; [unrolled: 6-line block ×5, first 2 shown]
	v_add_f16_e32 v81, v82, v81
	v_fma_f16 v82, v108, 0xbbdd, -v201
	v_add_f16_e32 v49, v50, v49
	v_fmac_f16_e64 v174, 0xbbb2, v98
	v_add_f16_e64 v50, v184, v51
	v_fma_f16 v51, v96, 0xb461, -v198
	v_add_f16_e32 v81, v82, v81
	v_fma_f16 v82, v110, 0x3722, -v197
	v_add_f16_e64 v86, v84, v174
	v_fmac_f16_e64 v160, 0x3836, v100
	v_add_f16_e32 v51, v30, v51
	v_fma_f16 v87, v97, 0xbacd, -v199
	v_fmac_f16_e64 v196, 0xb964, v98
	v_add_f16_e32 v81, v82, v81
	v_add_f16_e64 v82, v160, v86
	v_fma_f16 v86, v99, 0x39e9, -v190
	v_add_f16_e32 v51, v87, v51
	v_add_f16_e64 v87, v84, v196
	v_fmac_f16_e64 v207, 0xbbf7, v100
	v_fmac_f16_e64 v209, 0xba62, v101
	v_add_f16_e64 v185, v205, v185
	v_add_f16_e32 v51, v86, v51
	v_fma_f16 v86, v102, 0x3722, -v191
	v_add_f16_e64 v87, v207, v87
	v_mul_f16_e64 v205, 0xb964, v115
	v_fmac_f16_e64 v211, 0xb1e1, v103
	v_mul_f16_e64 v214, 0xbbf7, v116
	v_add_f16_e32 v51, v86, v51
	v_fma_f16 v86, v104, 0xbbdd, -v202
	v_add_f16_e64 v87, v209, v87
	v_fma_f16 v213, 0x39e9, v96, v205
	v_fmac_f16_e64 v210, 0x3836, v105
	v_fma_f16 v216, 0x2de8, v97, v214
	v_add_f16_e32 v51, v86, v51
	v_fma_f16 v86, v106, 0x2de8, -v203
	v_add_f16_e64 v87, v211, v87
	v_add_f16_e64 v213, v30, v213
	v_mul_f16_e64 v217, 0xba62, v117
	v_fmac_f16_e64 v215, 0x3bb2, v107
	v_add_f16_e32 v51, v86, v51
	v_fma_f16 v86, v108, 0x3b76, -v204
	v_add_f16_e64 v87, v210, v87
	v_fmac_f16_e64 v138, 0xb1e1, v98
	v_add_f16_e64 v213, v216, v213
	v_fma_f16 v216, 0xb8d2, v99, v217
	v_mul_f16_e64 v219, 0xb1e1, v119
	v_add_f16_e32 v51, v86, v51
	v_fma_f16 v86, v110, 0xb8d2, -v208
	v_add_f16_e64 v87, v215, v87
	v_fmac_f16_e64 v218, 0x3b29, v109
	v_fma_f16 v89, v96, 0x39e9, -v205
	v_fmac_f16_e32 v122, 0xb5c8, v98
	v_fma_f16 v35, v96, 0x3b76, -v35
	v_add_f16_e64 v31, v84, v138
	v_fmac_f16_e64 v136, 0x35c8, v100
	v_add_f16_e64 v185, v212, v185
	v_add_f16_e64 v212, v216, v213
	v_fma_f16 v213, 0xbbdd, v102, v219
	v_mul_f16_e64 v216, 0x3836, v121
	v_add_f16_e32 v51, v86, v51
	v_add_f16_e64 v86, v218, v87
	v_add_f16_e32 v87, v30, v89
	v_fma_f16 v89, v97, 0x2de8, -v214
	v_add_f16_e32 v84, v84, v122
	v_fmac_f16_e32 v124, 0xb964, v100
	v_add_f16_e32 v30, v30, v35
	v_fma_f16 v35, v97, 0x39e9, -v85
	v_add_f16_e64 v31, v136, v31
	v_fmac_f16_e64 v134, 0xb836, v101
	v_add_f16_e64 v212, v213, v212
	v_fma_f16 v213, 0xbacd, v104, v216
	v_mul_f16_e64 v220, 0x3bb2, v123
	v_fmac_f16_e64 v161, 0x3964, v101
	v_add_f16_e32 v87, v89, v87
	v_fma_f16 v89, v99, 0xb8d2, -v217
	v_add_f16_e32 v84, v124, v84
	v_fmac_f16_e64 v129, 0xbb29, v101
	v_add_f16_e32 v30, v35, v30
	v_fma_f16 v35, v99, 0x3722, -v92
	v_add_f16_e64 v31, v134, v31
	v_fmac_f16_e64 v135, 0x3964, v103
	v_add_f16_e64 v212, v213, v212
	v_fma_f16 v213, 0xb461, v106, v220
	v_mul_f16_e64 v223, 0x3b29, v128
	v_add_f16_e64 v82, v161, v82
	v_fmac_f16_e64 v162, 0xbb29, v103
	v_add_f16_e32 v85, v89, v87
	v_fma_f16 v87, v102, 0xbbdd, -v219
	v_add_f16_e64 v84, v129, v84
	v_fmac_f16_e32 v126, 0xbbf7, v103
	v_add_f16_e32 v30, v35, v30
	v_fma_f16 v33, v102, 0x2de8, -v33
	v_add_f16_e64 v31, v135, v31
	v_fmac_f16_e64 v139, 0xba62, v105
	v_add_f16_e64 v212, v213, v212
	v_fma_f16 v213, 0x3722, v108, v223
	v_add_f16_e64 v82, v162, v82
	v_fmac_f16_e64 v175, 0xb1e1, v105
	v_add_f16_e32 v85, v87, v85
	v_fma_f16 v87, v104, 0xbacd, -v216
	v_add_f16_e32 v84, v126, v84
	v_fmac_f16_e32 v127, 0xbbb2, v105
	v_add_f16_e32 v30, v33, v30
	v_fma_f16 v33, v104, 0xb461, -v39
	v_add_f16_e64 v31, v139, v31
	v_fmac_f16_e64 v140, 0x3b29, v107
	v_add_f16_e64 v212, v213, v212
	v_mul_f16_e64 v213, 0x35c8, v132
	v_add_f16_e64 v82, v175, v82
	v_fmac_f16_e64 v176, 0x3bf7, v107
	v_add_f16_e32 v35, v87, v85
	v_fma_f16 v85, v106, 0xb461, -v220
	v_add_f16_e32 v84, v127, v84
	v_fmac_f16_e32 v83, 0xba62, v107
	v_add_f16_e32 v30, v33, v30
	v_fma_f16 v33, v106, 0xb8d2, -v41
	v_add_f16_e64 v31, v140, v31
	v_fmac_f16_e64 v141, 0xbbb2, v109
	v_fma_f16 v222, 0x3b76, v110, v213
	v_add_f16_e64 v82, v176, v82
	v_fmac_f16_e64 v186, 0xb5c8, v109
	v_add_f16_e32 v35, v85, v35
	v_fma_f16 v39, v108, 0x3722, -v223
	v_add_f16_e32 v83, v83, v84
	v_fmac_f16_e32 v40, 0xb836, v109
	v_add_f16_e32 v30, v33, v30
	v_fma_f16 v32, v108, 0xbacd, -v32
	v_add_f16_e64 v31, v141, v31
	v_fmac_f16_e64 v142, 0x3bf7, v111
	v_and_b32_e32 v41, 0xffff, v47
	v_add_f16_e64 v88, v222, v212
	v_fmac_f16_e64 v169, 0xbbb2, v111
	v_add_f16_e64 v82, v186, v82
	v_fmac_f16_e64 v187, 0xba62, v111
	v_add_f16_e32 v35, v39, v35
	v_fma_f16 v39, v110, 0x3b76, -v213
	v_add_f16_e32 v40, v40, v83
	v_fmac_f16_e32 v42, 0xb1e1, v111
	v_fmac_f16_e64 v193, 0x35c8, v111
	v_add_f16_e32 v30, v32, v30
	v_fma_f16 v32, v110, 0xbbdd, -v38
	v_add_f16_e64 v31, v142, v31
	v_lshl_add_u32 v38, v41, 2, v46
	v_pack_b32_f16 v28, v28, v34
	v_pack_b32_f16 v25, v25, v26
	v_add_f16_e64 v36, v169, v36
	v_pack_b32_f16 v26, v185, v177
	v_pack_b32_f16 v34, v88, v206
	v_add_f16_e64 v82, v187, v82
	v_add_f16_e32 v35, v39, v35
	v_add_f16_e32 v39, v42, v40
	v_pack_b32_f16 v40, v164, v153
	v_pack_b32_f16 v41, v146, v137
	v_add_f16_e64 v33, v193, v86
	v_pack_b32_f16 v42, v118, v114
	v_pack_b32_f16 v46, v125, v120
	v_add_f16_e32 v30, v32, v30
	ds_store_2addr_b32 v38, v25, v28 offset1:1
	ds_store_2addr_b32 v38, v34, v26 offset0:2 offset1:3
	ds_store_2addr_b32 v38, v40, v41 offset0:4 offset1:5
	;; [unrolled: 1-line block ×3, first 2 shown]
	v_pack_b32_f16 v25, v29, v31
	v_pack_b32_f16 v26, v113, v112
	;; [unrolled: 1-line block ×5, first 2 shown]
	v_perm_b32 v32, v80, v27, 0x5040100
	v_pack_b32_f16 v33, v35, v33
	v_perm_b32 v34, v79, v37, 0x5040100
	v_pack_b32_f16 v30, v30, v39
	ds_store_2addr_b32 v38, v26, v25 offset0:8 offset1:9
	ds_store_2addr_b32 v38, v29, v28 offset0:10 offset1:11
	;; [unrolled: 1-line block ×4, first 2 shown]
	ds_store_b32 v38, v30 offset:64
.LBB0_17:
	s_wait_alu 0xfffe
	s_or_b32 exec_lo, exec_lo, s1
	global_wb scope:SCOPE_SE
	s_wait_dscnt 0x0
	s_barrier_signal -1
	s_barrier_wait -1
	global_inv scope:SCOPE_SE
	ds_load_2addr_b32 v[30:31], v48 offset1:85
	v_add_nc_u32_e32 v26, 0x400, v48
	ds_load_2addr_b32 v[32:33], v48 offset0:170 offset1:255
	v_add_nc_u32_e32 v25, 0x600, v48
	v_add_nc_u32_e32 v28, 0x800, v48
	;; [unrolled: 1-line block ×3, first 2 shown]
	ds_load_2addr_b32 v[34:35], v26 offset0:84 offset1:169
	ds_load_2addr_b32 v[38:39], v25 offset0:126 offset1:211
	;; [unrolled: 1-line block ×4, first 2 shown]
	ds_load_b32 v26, v48 offset:4080
	global_wb scope:SCOPE_SE
	s_wait_dscnt 0x0
	s_barrier_signal -1
	s_barrier_wait -1
	global_inv scope:SCOPE_SE
	v_lshrrev_b32_e32 v42, 16, v31
	v_lshrrev_b32_e32 v36, 16, v30
	;; [unrolled: 1-line block ×4, first 2 shown]
	s_delay_alu instid0(VALU_DEP_4)
	v_mul_f16_e32 v88, v64, v42
	v_lshrrev_b32_e32 v51, 16, v34
	v_lshrrev_b32_e32 v81, 16, v35
	v_mul_f16_e32 v64, v64, v31
	v_mul_f16_e32 v90, v63, v49
	;; [unrolled: 1-line block ×3, first 2 shown]
	v_fmac_f16_e32 v88, v12, v31
	v_mul_f16_e32 v31, v62, v50
	v_lshrrev_b32_e32 v82, 16, v38
	v_fma_f16 v42, v12, v42, -v64
	v_fmac_f16_e32 v90, v13, v32
	v_fma_f16 v32, v13, v49, -v63
	v_mul_f16_e32 v12, v62, v33
	v_fmac_f16_e32 v31, v14, v33
	v_mul_f16_e32 v33, v61, v51
	v_mul_f16_e32 v49, v61, v34
	;; [unrolled: 1-line block ×3, first 2 shown]
	v_fma_f16 v50, v14, v50, -v12
	v_mul_f16_e32 v14, v60, v35
	v_fmac_f16_e32 v33, v15, v34
	v_fma_f16 v15, v15, v51, -v49
	v_fmac_f16_e32 v13, v8, v35
	v_mul_f16_e32 v12, v59, v82
	v_mul_f16_e32 v34, v59, v38
	v_add_f16_e32 v35, v30, v88
	v_add_f16_e32 v49, v36, v42
	v_lshrrev_b32_e32 v83, 16, v39
	v_fmac_f16_e32 v12, v9, v38
	v_fma_f16 v9, v9, v82, -v34
	v_add_f16_e32 v34, v35, v90
	v_add_f16_e32 v35, v49, v32
	v_lshrrev_b32_e32 v84, 16, v40
	v_fma_f16 v14, v8, v81, -v14
	v_mul_f16_e32 v8, v58, v83
	v_mul_f16_e32 v38, v58, v39
	v_add_f16_e32 v34, v34, v31
	v_add_f16_e32 v35, v35, v50
	v_lshrrev_b32_e32 v85, 16, v41
	v_fmac_f16_e32 v8, v10, v39
	v_mul_f16_e32 v39, v57, v84
	v_fma_f16 v10, v10, v83, -v38
	v_mul_f16_e32 v38, v57, v40
	v_add_f16_e32 v34, v34, v33
	v_add_f16_e32 v35, v35, v15
	v_lshrrev_b32_e32 v86, 16, v46
	v_fmac_f16_e32 v39, v11, v40
	v_mul_f16_e32 v40, v56, v85
	v_fma_f16 v11, v11, v84, -v38
	v_mul_f16_e32 v38, v56, v41
	v_add_f16_e32 v34, v34, v13
	v_add_f16_e32 v35, v35, v14
	v_fmac_f16_e32 v40, v4, v41
	v_mul_f16_e32 v41, v54, v86
	v_fma_f16 v4, v4, v85, -v38
	v_add_f16_e32 v34, v34, v12
	v_add_f16_e32 v35, v35, v9
	v_mul_f16_e32 v38, v54, v46
	v_lshrrev_b32_e32 v87, 16, v47
	v_lshrrev_b32_e32 v89, 16, v26
	v_fmac_f16_e32 v41, v5, v46
	v_add_f16_e32 v34, v34, v8
	v_add_f16_e32 v35, v35, v10
	v_fma_f16 v5, v5, v86, -v38
	v_mul_f16_e32 v38, v53, v26
	v_mul_f16_e32 v46, v52, v87
	v_add_f16_e32 v34, v34, v39
	v_add_f16_e32 v35, v35, v11
	v_mul_f16_e32 v49, v53, v89
	v_fma_f16 v38, v7, v89, -v38
	v_fmac_f16_e32 v46, v6, v47
	v_mul_f16_e32 v47, v52, v47
	v_add_f16_e32 v34, v34, v40
	v_add_f16_e32 v35, v35, v4
	v_fmac_f16_e32 v49, v7, v26
	v_sub_f16_e32 v26, v42, v38
	v_fma_f16 v47, v6, v87, -v47
	v_add_f16_e32 v6, v34, v41
	v_add_f16_e32 v7, v35, v5
	;; [unrolled: 1-line block ×3, first 2 shown]
	v_mul_f16_e32 v35, 0xb770, v26
	v_add_f16_e32 v42, v42, v38
	v_sub_f16_e32 v87, v32, v47
	v_add_f16_e32 v7, v7, v47
	v_add_f16_e32 v6, v6, v46
	v_fmamk_f16 v52, v34, 0x3b15, v35
	v_sub_f16_e32 v51, v88, v49
	v_mul_f16_e32 v53, 0x3b15, v42
	v_add_f16_e32 v7, v7, v38
	v_mul_f16_e32 v54, 0x388b, v42
	v_add_f16_e32 v38, v30, v52
	v_mul_f16_e32 v52, 0xba95, v26
	v_mul_f16_e32 v58, 0xbbf1, v26
	;; [unrolled: 1-line block ×9, first 2 shown]
	v_add_f16_e32 v89, v90, v46
	v_mul_f16_e32 v91, 0xba95, v87
	v_add_f16_e32 v32, v32, v47
	v_add_f16_e32 v6, v6, v49
	v_fmamk_f16 v49, v51, 0x3770, v53
	v_fma_f16 v35, v34, 0x3b15, -v35
	v_fmac_f16_e32 v53, 0xb770, v51
	v_fmamk_f16 v56, v34, 0x388b, v52
	v_fmamk_f16 v57, v51, 0x3a95, v54
	v_fma_f16 v52, v34, 0x388b, -v52
	v_fmac_f16_e32 v54, 0xba95, v51
	v_fmamk_f16 v59, v34, 0x2fb7, v58
	;; [unrolled: 4-line block ×5, first 2 shown]
	v_fmamk_f16 v88, v51, 0x33a8, v42
	v_fma_f16 v26, v34, 0xbbc4, -v26
	v_fmac_f16_e32 v42, 0xb3a8, v51
	v_sub_f16_e32 v34, v90, v46
	v_fmamk_f16 v46, v89, 0x388b, v91
	v_mul_f16_e32 v47, 0x388b, v32
	v_add_f16_e32 v49, v36, v49
	v_add_f16_e32 v35, v30, v35
	;; [unrolled: 1-line block ×24, first 2 shown]
	v_fmamk_f16 v38, v34, 0x3a95, v47
	v_mul_f16_e32 v42, 0xbb7b, v87
	v_fma_f16 v46, v89, 0x388b, -v91
	v_fmac_f16_e32 v47, 0xba95, v34
	v_mul_f16_e32 v88, 0xb5ac, v32
	v_add_f16_e32 v38, v38, v49
	v_fmamk_f16 v49, v89, 0xb5ac, v42
	v_add_f16_e32 v35, v46, v35
	v_add_f16_e32 v46, v47, v53
	v_fmamk_f16 v47, v34, 0x3b7b, v88
	v_mul_f16_e32 v53, 0xb3a8, v87
	v_add_f16_e32 v49, v49, v56
	v_fma_f16 v42, v89, 0xb5ac, -v42
	v_fmac_f16_e32 v88, 0xbb7b, v34
	v_add_f16_e32 v47, v47, v57
	v_fmamk_f16 v56, v89, 0xbbc4, v53
	v_mul_f16_e32 v57, 0xbbc4, v32
	v_add_f16_e32 v42, v42, v52
	v_add_f16_e32 v52, v88, v54
	v_mul_f16_e32 v54, 0x394e, v87
	v_add_f16_e32 v56, v56, v59
	v_fmamk_f16 v59, v34, 0x33a8, v57
	v_fmac_f16_e32 v57, 0xb3a8, v34
	v_mul_f16_e32 v90, 0xb9fd, v32
	v_fma_f16 v53, v89, 0xbbc4, -v53
	v_fmamk_f16 v88, v89, 0xb9fd, v54
	v_add_f16_e32 v59, v59, v62
	v_add_f16_e32 v57, v57, v60
	v_fmamk_f16 v60, v34, 0xb94e, v90
	v_mul_f16_e32 v62, 0x3bf1, v87
	v_add_f16_e32 v53, v53, v58
	v_add_f16_e32 v58, v88, v63
	v_fma_f16 v54, v89, 0xb9fd, -v54
	v_mul_f16_e32 v63, 0x2fb7, v32
	v_add_f16_e32 v60, v60, v81
	v_fmamk_f16 v81, v89, 0x2fb7, v62
	v_mul_f16_e32 v87, 0x3770, v87
	v_fma_f16 v62, v89, 0x2fb7, -v62
	v_add_f16_e32 v54, v54, v61
	v_fmamk_f16 v61, v34, 0xbbf1, v63
	v_add_f16_e32 v81, v81, v84
	v_fmac_f16_e32 v63, 0x3bf1, v34
	v_fmamk_f16 v84, v89, 0x3b15, v87
	v_add_f16_e32 v62, v62, v82
	v_sub_f16_e32 v82, v50, v5
	v_add_f16_e32 v61, v61, v85
	v_mul_f16_e32 v32, 0x3b15, v32
	v_add_f16_e32 v63, v63, v83
	v_add_f16_e32 v83, v84, v86
	;; [unrolled: 1-line block ×3, first 2 shown]
	v_mul_f16_e32 v86, 0xbbf1, v82
	v_add_f16_e32 v5, v50, v5
	v_fmac_f16_e32 v90, 0x394e, v34
	v_fmamk_f16 v84, v34, 0xb770, v32
	v_fma_f16 v50, v89, 0x3b15, -v87
	v_fmac_f16_e32 v32, 0x3770, v34
	v_sub_f16_e32 v31, v31, v41
	v_fmamk_f16 v34, v85, 0x2fb7, v86
	v_mul_f16_e32 v41, 0x2fb7, v5
	v_add_f16_e32 v51, v84, v51
	v_add_f16_e32 v26, v50, v26
	;; [unrolled: 1-line block ×4, first 2 shown]
	v_fmamk_f16 v34, v31, 0x3bf1, v41
	v_mul_f16_e32 v36, 0xb3a8, v82
	v_fma_f16 v50, v85, 0x2fb7, -v86
	v_fmac_f16_e32 v41, 0xbbf1, v31
	v_mul_f16_e32 v84, 0xbbc4, v5
	v_add_f16_e32 v34, v34, v38
	v_fmamk_f16 v38, v85, 0xbbc4, v36
	v_add_f16_e32 v35, v50, v35
	v_add_f16_e32 v41, v41, v46
	v_fmamk_f16 v46, v31, 0x33a8, v84
	v_mul_f16_e32 v50, 0x3b7b, v82
	v_fma_f16 v36, v85, 0xbbc4, -v36
	v_fmac_f16_e32 v84, 0xb3a8, v31
	v_add_f16_e32 v38, v38, v49
	v_add_f16_e32 v46, v46, v47
	v_fmamk_f16 v47, v85, 0xb5ac, v50
	v_mul_f16_e32 v49, 0xb5ac, v5
	v_add_f16_e32 v36, v36, v42
	v_add_f16_e32 v42, v84, v52
	v_mul_f16_e32 v52, 0x3770, v82
	v_add_f16_e32 v47, v47, v56
	v_fmamk_f16 v56, v31, 0xbb7b, v49
	v_fma_f16 v50, v85, 0xb5ac, -v50
	v_fmac_f16_e32 v49, 0x3b7b, v31
	v_fmamk_f16 v84, v85, 0x3b15, v52
	v_mul_f16_e32 v86, 0x3b15, v5
	v_add_f16_e32 v56, v56, v59
	v_add_f16_e32 v50, v50, v53
	v_add_f16_e32 v49, v49, v57
	v_add_f16_e32 v53, v84, v58
	v_fmamk_f16 v57, v31, 0xb770, v86
	v_mul_f16_e32 v58, 0xba95, v82
	v_fma_f16 v52, v85, 0x3b15, -v52
	v_mul_f16_e32 v59, 0x388b, v5
	v_mul_f16_e32 v82, 0xb94e, v82
	v_add_f16_e32 v57, v57, v60
	v_fmamk_f16 v60, v85, 0x388b, v58
	v_add_f16_e32 v52, v52, v54
	v_fmamk_f16 v54, v31, 0x3a95, v59
	v_fma_f16 v58, v85, 0x388b, -v58
	v_fmac_f16_e32 v59, 0xba95, v31
	v_add_f16_e32 v60, v60, v81
	v_mul_f16_e32 v5, 0xb9fd, v5
	v_add_f16_e32 v54, v54, v61
	v_fmamk_f16 v61, v85, 0xb9fd, v82
	v_add_f16_e32 v58, v58, v62
	v_sub_f16_e32 v62, v15, v4
	v_add_f16_e32 v81, v33, v40
	v_add_f16_e32 v4, v15, v4
	;; [unrolled: 1-line block ×3, first 2 shown]
	v_fmac_f16_e32 v86, 0x3770, v31
	v_mul_f16_e32 v83, 0xbb7b, v62
	v_add_f16_e32 v59, v59, v63
	v_fmamk_f16 v63, v31, 0x394e, v5
	v_fma_f16 v15, v85, 0xb9fd, -v82
	v_fmac_f16_e32 v5, 0xb94e, v31
	v_sub_f16_e32 v31, v33, v40
	v_fmamk_f16 v33, v81, 0xb5ac, v83
	v_mul_f16_e32 v40, 0xb5ac, v4
	v_add_f16_e32 v51, v63, v51
	v_add_f16_e32 v15, v15, v26
	;; [unrolled: 1-line block ×4, first 2 shown]
	v_fmamk_f16 v30, v31, 0x3b7b, v40
	v_mul_f16_e32 v32, 0x394e, v62
	v_fma_f16 v33, v81, 0xb5ac, -v83
	v_fmac_f16_e32 v40, 0xbb7b, v31
	v_mul_f16_e32 v63, 0xb9fd, v4
	v_add_f16_e32 v30, v30, v34
	v_fmamk_f16 v34, v81, 0xb9fd, v32
	v_add_f16_e32 v33, v33, v35
	v_add_f16_e32 v35, v40, v41
	v_fmamk_f16 v40, v31, 0xb94e, v63
	v_mul_f16_e32 v41, 0x3770, v62
	v_fma_f16 v32, v81, 0xb9fd, -v32
	v_fmac_f16_e32 v63, 0x394e, v31
	v_add_f16_e32 v34, v34, v38
	v_add_f16_e32 v38, v40, v46
	v_fmamk_f16 v40, v81, 0x3b15, v41
	v_mul_f16_e32 v46, 0x3b15, v4
	v_add_f16_e32 v32, v32, v36
	v_add_f16_e32 v36, v63, v42
	v_mul_f16_e32 v42, 0xbbf1, v62
	v_add_f16_e32 v40, v40, v47
	v_fmamk_f16 v47, v31, 0xb770, v46
	v_fma_f16 v41, v81, 0x3b15, -v41
	v_fmac_f16_e32 v46, 0x3770, v31
	v_fmamk_f16 v63, v81, 0x2fb7, v42
	v_mul_f16_e32 v82, 0x2fb7, v4
	v_add_f16_e32 v47, v47, v56
	v_add_f16_e32 v41, v41, v50
	;; [unrolled: 1-line block ×4, first 2 shown]
	v_fmamk_f16 v50, v31, 0x3bf1, v82
	v_mul_f16_e32 v53, 0x33a8, v62
	v_fma_f16 v42, v81, 0x2fb7, -v42
	v_mul_f16_e32 v56, 0xbbc4, v4
	v_mul_f16_e32 v62, 0x3a95, v62
	v_add_f16_e32 v50, v50, v57
	v_fmamk_f16 v57, v81, 0xbbc4, v53
	v_add_f16_e32 v42, v42, v52
	v_fmamk_f16 v52, v31, 0xb3a8, v56
	v_fma_f16 v53, v81, 0xbbc4, -v53
	v_fmac_f16_e32 v56, 0x33a8, v31
	v_add_f16_e32 v57, v57, v60
	v_mul_f16_e32 v4, 0x388b, v4
	v_add_f16_e32 v52, v52, v54
	v_fmamk_f16 v54, v81, 0x388b, v62
	v_add_f16_e32 v53, v53, v58
	v_sub_f16_e32 v58, v14, v11
	v_add_f16_e32 v60, v13, v39
	v_add_f16_e32 v11, v14, v11
	v_add_f16_e32 v54, v54, v61
	v_fmac_f16_e32 v82, 0xbbf1, v31
	v_mul_f16_e32 v61, 0xb94e, v58
	v_add_f16_e32 v56, v56, v59
	v_fmamk_f16 v59, v31, 0xba95, v4
	v_fma_f16 v14, v81, 0x388b, -v62
	v_fmac_f16_e32 v4, 0x3a95, v31
	v_sub_f16_e32 v13, v13, v39
	v_fmamk_f16 v31, v60, 0xb9fd, v61
	v_mul_f16_e32 v39, 0xb9fd, v11
	v_add_f16_e32 v51, v59, v51
	v_add_f16_e32 v14, v14, v15
	;; [unrolled: 1-line block ×4, first 2 shown]
	v_fmamk_f16 v15, v13, 0x394e, v39
	v_mul_f16_e32 v26, 0x3bf1, v58
	v_fma_f16 v31, v60, 0xb9fd, -v61
	v_fmac_f16_e32 v39, 0xb94e, v13
	v_mul_f16_e32 v59, 0x2fb7, v11
	v_add_f16_e32 v15, v15, v30
	v_fmamk_f16 v30, v60, 0x2fb7, v26
	v_add_f16_e32 v31, v31, v33
	v_add_f16_e32 v33, v39, v35
	v_fmamk_f16 v35, v13, 0xbbf1, v59
	v_mul_f16_e32 v39, 0xba95, v58
	v_add_f16_e32 v30, v30, v34
	v_fma_f16 v26, v60, 0x2fb7, -v26
	v_fmac_f16_e32 v59, 0x3bf1, v13
	v_add_f16_e32 v34, v35, v38
	v_fmamk_f16 v35, v60, 0x388b, v39
	v_mul_f16_e32 v38, 0x388b, v11
	v_add_f16_e32 v32, v26, v32
	v_mul_f16_e32 v26, 0x33a8, v58
	v_mul_f16_e32 v61, 0xbbc4, v11
	v_add_f16_e32 v35, v35, v40
	v_fmamk_f16 v40, v13, 0x3a95, v38
	v_fmac_f16_e32 v38, 0xba95, v13
	v_add_f16_e32 v36, v59, v36
	v_fma_f16 v39, v60, 0x388b, -v39
	v_fmamk_f16 v59, v60, 0xbbc4, v26
	v_add_f16_e32 v40, v40, v47
	v_add_f16_e32 v38, v38, v46
	v_fmamk_f16 v46, v13, 0xb3a8, v61
	v_mul_f16_e32 v47, 0x3770, v58
	v_add_f16_e32 v39, v39, v41
	v_add_f16_e32 v41, v59, v49
	v_fma_f16 v26, v60, 0xbbc4, -v26
	v_mul_f16_e32 v49, 0x3b15, v11
	v_add_f16_e32 v46, v46, v50
	v_fmamk_f16 v50, v60, 0x3b15, v47
	v_fma_f16 v47, v60, 0x3b15, -v47
	v_add_f16_e32 v42, v26, v42
	v_fmamk_f16 v26, v13, 0xb770, v49
	v_mul_f16_e32 v58, 0xbb7b, v58
	v_fmac_f16_e32 v49, 0x3770, v13
	v_add_f16_e32 v47, v47, v53
	v_sub_f16_e32 v53, v9, v10
	v_add_f16_e32 v50, v50, v57
	v_add_f16_e32 v52, v26, v52
	v_fmamk_f16 v26, v60, 0xb5ac, v58
	v_mul_f16_e32 v11, 0xb5ac, v11
	v_add_f16_e32 v49, v49, v56
	v_add_f16_e32 v56, v12, v8
	v_mul_f16_e32 v57, 0xb3a8, v53
	v_add_f16_e32 v9, v9, v10
	v_fmac_f16_e32 v61, 0x33a8, v13
	v_add_f16_e32 v54, v26, v54
	v_fmamk_f16 v26, v13, 0x3b7b, v11
	v_fma_f16 v10, v60, 0xb5ac, -v58
	v_fmac_f16_e32 v11, 0xbb7b, v13
	v_sub_f16_e32 v8, v12, v8
	v_fmamk_f16 v12, v56, 0xbbc4, v57
	v_mul_f16_e32 v13, 0xbbc4, v9
	v_add_f16_e32 v10, v10, v14
	v_add_f16_e32 v11, v11, v4
	v_fma_f16 v14, v56, 0xbbc4, -v57
	v_add_f16_e32 v12, v12, v5
	v_fmamk_f16 v4, v8, 0x33a8, v13
	v_mul_f16_e32 v5, 0x3770, v53
	v_fmac_f16_e32 v13, 0xb3a8, v8
	v_mul_f16_e32 v57, 0x3b15, v9
	v_add_f16_e32 v51, v26, v51
	v_add_f16_e32 v15, v4, v15
	v_fmamk_f16 v4, v56, 0x3b15, v5
	v_add_f16_e32 v26, v14, v31
	v_add_f16_e32 v31, v13, v33
	v_fmamk_f16 v13, v8, 0xb770, v57
	v_mul_f16_e32 v14, 0xb94e, v53
	v_add_f16_e32 v33, v4, v30
	v_fma_f16 v4, v56, 0x3b15, -v5
	v_fmac_f16_e32 v57, 0x3770, v8
	v_add_f16_e32 v13, v13, v34
	v_mul_f16_e32 v34, 0xb9fd, v9
	v_fmamk_f16 v30, v56, 0xb9fd, v14
	v_add_f16_e32 v5, v4, v32
	v_add_f16_e32 v32, v57, v36
	v_mul_f16_e32 v36, 0x3a95, v53
	v_fmamk_f16 v4, v8, 0x394e, v34
	v_fmac_f16_e32 v34, 0xb94e, v8
	v_add_f16_e32 v35, v30, v35
	v_fma_f16 v14, v56, 0xb9fd, -v14
	v_fmamk_f16 v57, v56, 0x388b, v36
	v_mul_f16_e32 v58, 0x388b, v9
	v_add_f16_e32 v30, v34, v38
	v_mul_f16_e32 v38, 0xbb7b, v53
	v_add_f16_e32 v64, v90, v64
	v_add_f16_e32 v40, v4, v40
	;; [unrolled: 1-line block ×4, first 2 shown]
	v_fmamk_f16 v34, v8, 0xba95, v58
	v_mul_f16_e32 v39, 0xb5ac, v9
	v_fmamk_f16 v41, v56, 0xb5ac, v38
	v_add_f16_e32 v64, v86, v64
	v_fma_f16 v38, v56, 0xb5ac, -v38
	v_add_f16_e32 v34, v34, v46
	v_fmamk_f16 v46, v8, 0x3b7b, v39
	v_add_f16_e32 v41, v41, v50
	v_mul_f16_e32 v50, 0x3bf1, v53
	v_mul_f16_e32 v9, 0x2fb7, v9
	v_add_f16_e32 v63, v82, v64
	v_add_f16_e32 v46, v46, v52
	;; [unrolled: 1-line block ×3, first 2 shown]
	v_fmac_f16_e32 v39, 0xbb7b, v8
	v_fmamk_f16 v47, v56, 0x2fb7, v50
	v_fmamk_f16 v52, v8, 0xbbf1, v9
	v_fma_f16 v50, v56, 0x2fb7, -v50
	v_fmac_f16_e32 v9, 0x3bf1, v8
	v_add_f16_e32 v59, v61, v63
	v_fma_f16 v36, v56, 0x388b, -v36
	v_fmac_f16_e32 v58, 0x3a95, v8
	v_pack_b32_f16 v6, v6, v7
	v_pack_b32_f16 v7, v12, v15
	v_add_f16_e32 v8, v39, v49
	v_add_f16_e32 v39, v47, v54
	;; [unrolled: 1-line block ×5, first 2 shown]
	v_pack_b32_f16 v11, v33, v13
	v_pack_b32_f16 v12, v35, v40
	v_add_f16_e32 v36, v36, v42
	v_add_f16_e32 v42, v58, v59
	ds_store_2addr_b32 v65, v6, v7 offset1:17
	ds_store_2addr_b32 v65, v11, v12 offset0:34 offset1:51
	v_pack_b32_f16 v6, v14, v34
	v_pack_b32_f16 v7, v41, v46
	;; [unrolled: 1-line block ×9, first 2 shown]
	ds_store_2addr_b32 v65, v6, v7 offset0:68 offset1:85
	ds_store_2addr_b32 v65, v11, v9 offset0:102 offset1:119
	ds_store_2addr_b32 v65, v8, v10 offset0:136 offset1:153
	ds_store_2addr_b32 v65, v12, v13 offset0:170 offset1:187
	ds_store_b32 v65, v14 offset:816
	v_add_nc_u32_e32 v8, 0x200, v48
	global_wb scope:SCOPE_SE
	s_wait_dscnt 0x0
	s_barrier_signal -1
	s_barrier_wait -1
	global_inv scope:SCOPE_SE
	ds_load_2addr_b32 v[6:7], v48 offset1:85
	ds_load_2addr_b32 v[14:15], v8 offset0:93 offset1:178
	ds_load_2addr_b32 v[12:13], v25 offset0:58 offset1:143
	;; [unrolled: 1-line block ×4, first 2 shown]
	v_add_nc_u32_e32 v25, 0x154, v78
	s_and_saveexec_b32 s1, s0
	s_cbranch_execz .LBB0_19
; %bb.18:
	v_add_nc_u32_e32 v4, 0x280, v48
	v_add_nc_u32_e32 v26, 0x980, v48
	ds_load_2addr_b32 v[4:5], v4 offset0:10 offset1:231
	ds_load_2addr_b32 v[26:27], v26 offset0:4 offset1:225
	ds_load_b32 v37, v48 offset:4216
	s_wait_dscnt 0x2
	v_lshrrev_b32_e32 v30, 16, v4
	v_lshrrev_b32_e32 v32, 16, v5
	s_wait_dscnt 0x1
	v_lshrrev_b32_e32 v31, 16, v26
	v_lshrrev_b32_e32 v80, 16, v27
	s_wait_dscnt 0x0
	v_lshrrev_b32_e32 v79, 16, v37
.LBB0_19:
	s_wait_alu 0xfffe
	s_or_b32 exec_lo, exec_lo, s1
	s_wait_dscnt 0x3
	v_lshrrev_b32_e32 v29, 16, v14
	s_wait_dscnt 0x2
	v_lshrrev_b32_e32 v33, 16, v12
	;; [unrolled: 2-line block ×4, first 2 shown]
	v_mul_f16_e32 v40, v77, v14
	v_mul_f16_e32 v39, v77, v29
	v_lshrrev_b32_e32 v38, 16, v15
	v_mul_f16_e32 v47, v75, v10
	v_mul_f16_e32 v48, v72, v35
	v_lshrrev_b32_e32 v41, 16, v13
	v_fmac_f16_e32 v39, v20, v14
	v_fma_f16 v14, v20, v29, -v40
	v_mul_f16_e32 v20, v76, v33
	v_mul_f16_e32 v29, v76, v12
	;; [unrolled: 1-line block ×3, first 2 shown]
	v_fmac_f16_e32 v48, v23, v8
	v_mul_f16_e32 v8, v72, v8
	v_fmac_f16_e32 v20, v21, v12
	v_fma_f16 v12, v21, v33, -v29
	v_fmac_f16_e32 v40, v22, v10
	v_fma_f16 v10, v22, v34, -v47
	v_mul_f16_e32 v21, v74, v38
	v_mul_f16_e32 v22, v74, v15
	v_lshrrev_b32_e32 v42, 16, v11
	v_lshrrev_b32_e32 v46, 16, v9
	v_mul_f16_e32 v29, v73, v41
	v_mul_f16_e32 v33, v73, v13
	v_fma_f16 v8, v23, v35, -v8
	v_fmac_f16_e32 v21, v16, v15
	v_fma_f16 v15, v16, v38, -v22
	v_add_f16_e32 v16, v20, v40
	v_lshrrev_b32_e32 v28, 16, v6
	v_fmac_f16_e32 v29, v17, v13
	v_fma_f16 v13, v17, v41, -v33
	v_mul_f16_e32 v17, v71, v42
	v_mul_f16_e32 v22, v71, v11
	;; [unrolled: 1-line block ×3, first 2 shown]
	v_add_f16_e32 v33, v6, v39
	v_fma_f16 v16, -0.5, v16, v6
	v_sub_f16_e32 v34, v14, v8
	v_add_f16_e32 v41, v39, v48
	v_fmac_f16_e32 v17, v18, v11
	v_fma_f16 v11, v18, v42, -v22
	v_fmac_f16_e32 v23, v19, v9
	v_add_f16_e32 v18, v33, v20
	v_fmamk_f16 v22, v34, 0xbb9c, v16
	v_sub_f16_e32 v33, v12, v10
	v_mul_f16_e32 v9, v70, v9
	v_fma_f16 v6, -0.5, v41, v6
	v_fmac_f16_e32 v16, 0x3b9c, v34
	v_add_f16_e32 v42, v28, v14
	v_sub_f16_e32 v35, v39, v20
	v_sub_f16_e32 v38, v48, v40
	v_fmac_f16_e32 v22, 0xb8b4, v33
	v_fma_f16 v9, v19, v46, -v9
	v_fmamk_f16 v19, v33, 0x3b9c, v6
	v_fmac_f16_e32 v16, 0x38b4, v33
	v_fmac_f16_e32 v6, 0xbb9c, v33
	v_add_f16_e32 v33, v42, v12
	v_add_f16_e32 v35, v35, v38
	v_sub_f16_e32 v38, v20, v39
	v_sub_f16_e32 v41, v40, v48
	v_add_f16_e32 v46, v12, v10
	v_add_f16_e32 v33, v33, v10
	;; [unrolled: 1-line block ×3, first 2 shown]
	v_fmac_f16_e32 v22, 0x34f2, v35
	v_add_f16_e32 v38, v38, v41
	v_fma_f16 v41, -0.5, v46, v28
	v_sub_f16_e32 v39, v39, v48
	v_fmac_f16_e32 v16, 0x34f2, v35
	v_add_f16_e32 v35, v14, v8
	v_sub_f16_e32 v20, v20, v40
	v_sub_f16_e32 v40, v14, v12
	;; [unrolled: 1-line block ×3, first 2 shown]
	v_add_f16_e32 v33, v33, v8
	v_sub_f16_e32 v12, v12, v14
	v_sub_f16_e32 v8, v10, v8
	v_fmac_f16_e32 v19, 0xb8b4, v34
	v_fmac_f16_e32 v6, 0x38b4, v34
	v_fmamk_f16 v34, v39, 0x3b9c, v41
	v_fmac_f16_e32 v28, -0.5, v35
	v_fmac_f16_e32 v41, 0xbb9c, v39
	v_add_f16_e32 v10, v29, v17
	v_add_f16_e32 v8, v12, v8
	;; [unrolled: 1-line block ×3, first 2 shown]
	v_lshrrev_b32_e32 v36, 16, v7
	v_fmac_f16_e32 v19, 0x34f2, v38
	v_fmac_f16_e32 v6, 0x34f2, v38
	;; [unrolled: 1-line block ×3, first 2 shown]
	v_add_f16_e32 v35, v40, v42
	v_fmamk_f16 v38, v20, 0xbb9c, v28
	v_fmac_f16_e32 v41, 0xb8b4, v20
	v_fma_f16 v10, -0.5, v10, v7
	v_sub_f16_e32 v14, v15, v9
	v_fmac_f16_e32 v28, 0x3b9c, v20
	v_add_f16_e32 v12, v12, v29
	v_add_f16_e32 v46, v21, v23
	v_fmac_f16_e32 v34, 0x34f2, v35
	v_fmac_f16_e32 v38, 0x38b4, v39
	v_fmac_f16_e32 v41, 0x34f2, v35
	v_fmamk_f16 v20, v14, 0xbb9c, v10
	v_sub_f16_e32 v35, v13, v11
	v_fmac_f16_e32 v28, 0xb8b4, v39
	v_add_f16_e32 v12, v12, v17
	v_fmac_f16_e32 v7, -0.5, v46
	v_fmac_f16_e32 v10, 0x3b9c, v14
	v_add_f16_e32 v46, v36, v15
	v_fmac_f16_e32 v38, 0x34f2, v8
	v_sub_f16_e32 v40, v21, v29
	v_sub_f16_e32 v42, v23, v17
	v_fmac_f16_e32 v20, 0xb8b4, v35
	v_fmac_f16_e32 v28, 0x34f2, v8
	v_add_f16_e32 v8, v12, v23
	v_fmamk_f16 v12, v35, 0x3b9c, v7
	v_fmac_f16_e32 v10, 0x38b4, v35
	v_fmac_f16_e32 v7, 0xbb9c, v35
	v_add_f16_e32 v35, v46, v13
	v_add_f16_e32 v39, v40, v42
	v_sub_f16_e32 v40, v29, v21
	v_sub_f16_e32 v42, v17, v23
	v_add_f16_e32 v47, v13, v11
	v_fmac_f16_e32 v12, 0xb8b4, v14
	v_fmac_f16_e32 v7, 0x38b4, v14
	v_add_f16_e32 v14, v35, v11
	v_add_f16_e32 v35, v15, v9
	;; [unrolled: 1-line block ×3, first 2 shown]
	v_fma_f16 v42, -0.5, v47, v36
	v_sub_f16_e32 v21, v21, v23
	v_sub_f16_e32 v17, v29, v17
	v_fmac_f16_e32 v36, -0.5, v35
	v_fmac_f16_e32 v20, 0x34f2, v39
	v_fmac_f16_e32 v10, 0x34f2, v39
	v_fmamk_f16 v23, v21, 0x3b9c, v42
	v_sub_f16_e32 v29, v15, v13
	v_sub_f16_e32 v39, v9, v11
	v_add_f16_e32 v14, v14, v9
	v_fmamk_f16 v35, v17, 0xbb9c, v36
	v_sub_f16_e32 v13, v13, v15
	v_sub_f16_e32 v9, v11, v9
	v_fmac_f16_e32 v42, 0xbb9c, v21
	v_fmac_f16_e32 v36, 0x3b9c, v17
	;; [unrolled: 1-line block ×3, first 2 shown]
	v_add_f16_e32 v29, v29, v39
	v_fmac_f16_e32 v35, 0x38b4, v21
	v_add_f16_e32 v9, v13, v9
	v_fmac_f16_e32 v42, 0xb8b4, v17
	v_fmac_f16_e32 v36, 0xb8b4, v21
	v_pack_b32_f16 v11, v22, v34
	v_pack_b32_f16 v13, v19, v38
	v_add_nc_u32_e32 v15, 0x300, v55
	v_add_f16_e32 v18, v18, v48
	v_fmac_f16_e32 v12, 0x34f2, v40
	v_fmac_f16_e32 v23, 0x34f2, v29
	;; [unrolled: 1-line block ×6, first 2 shown]
	ds_store_2addr_b32 v15, v11, v13 offset0:29 offset1:250
	v_pack_b32_f16 v11, v6, v28
	v_pack_b32_f16 v13, v16, v41
	v_add_nc_u32_e32 v15, 0xa00, v55
	v_lshl_add_u32 v6, v45, 2, v43
	v_pack_b32_f16 v9, v18, v33
	v_pack_b32_f16 v8, v8, v14
	;; [unrolled: 1-line block ×4, first 2 shown]
	v_add_nc_u32_e32 v16, 0x300, v25
	v_pack_b32_f16 v7, v7, v36
	v_pack_b32_f16 v10, v10, v42
	v_add_nc_u32_e32 v17, 0xa00, v25
	ds_store_2addr_b32 v15, v11, v13 offset0:23 offset1:244
	ds_store_2addr_b32 v55, v9, v8 offset1:85
	ds_store_2addr_b32 v16, v14, v12 offset0:29 offset1:250
	ds_store_2addr_b32 v17, v7, v10 offset0:23 offset1:244
	s_and_saveexec_b32 s1, s0
	s_cbranch_execz .LBB0_21
; %bb.20:
	v_mul_f16_e32 v7, v69, v26
	v_mul_f16_e32 v8, v66, v5
	;; [unrolled: 1-line block ×5, first 2 shown]
	v_fma_f16 v7, v1, v31, -v7
	v_fma_f16 v8, v0, v32, -v8
	v_mul_f16_e32 v11, v69, v31
	v_fma_f16 v10, v3, v79, -v10
	v_fma_f16 v9, v2, v80, -v9
	v_fmac_f16_e32 v12, v2, v27
	v_mul_f16_e32 v2, v66, v32
	v_mul_f16_e32 v14, v67, v79
	v_sub_f16_e32 v13, v7, v8
	v_fmac_f16_e32 v11, v1, v26
	v_add_f16_e32 v1, v8, v10
	v_sub_f16_e32 v15, v9, v10
	v_fmac_f16_e32 v2, v0, v5
	v_fmac_f16_e32 v14, v3, v37
	v_add_f16_e32 v0, v7, v9
	v_sub_f16_e32 v16, v11, v12
	v_fma_f16 v1, -0.5, v1, v30
	v_add_f16_e32 v3, v13, v15
	v_sub_f16_e32 v13, v2, v14
	v_fma_f16 v0, -0.5, v0, v30
	v_sub_f16_e32 v15, v8, v7
	v_fmamk_f16 v5, v16, 0x3b9c, v1
	v_fmac_f16_e32 v1, 0xbb9c, v16
	v_sub_f16_e32 v17, v10, v9
	v_fmamk_f16 v18, v13, 0xbb9c, v0
	v_add_f16_e32 v19, v30, v8
	v_fmac_f16_e32 v0, 0x3b9c, v13
	v_fmac_f16_e32 v5, 0xb8b4, v13
	;; [unrolled: 1-line block ×3, first 2 shown]
	v_add_f16_e32 v15, v15, v17
	v_fmac_f16_e32 v18, 0xb8b4, v16
	v_add_f16_e32 v13, v19, v7
	v_fmac_f16_e32 v0, 0x38b4, v16
	v_fmac_f16_e32 v5, 0x34f2, v3
	;; [unrolled: 1-line block ×4, first 2 shown]
	v_add_f16_e32 v3, v13, v9
	v_fmac_f16_e32 v0, 0x34f2, v15
	v_add_f16_e32 v15, v2, v14
	v_add_f16_e32 v17, v11, v12
	v_sub_f16_e32 v13, v11, v2
	v_sub_f16_e32 v16, v12, v14
	v_add_f16_e32 v3, v3, v10
	v_sub_f16_e32 v8, v8, v10
	v_fma_f16 v10, -0.5, v15, v4
	v_fma_f16 v15, -0.5, v17, v4
	v_add_f16_e32 v4, v4, v2
	v_sub_f16_e32 v7, v7, v9
	v_add_f16_e32 v13, v13, v16
	v_sub_f16_e32 v2, v2, v11
	v_sub_f16_e32 v9, v14, v12
	v_fmamk_f16 v16, v8, 0x3b9c, v15
	v_add_f16_e32 v4, v4, v11
	v_fmac_f16_e32 v15, 0xbb9c, v8
	v_fmamk_f16 v11, v7, 0xbb9c, v10
	v_fmac_f16_e32 v10, 0x3b9c, v7
	v_add_f16_e32 v2, v2, v9
	v_add_f16_e32 v4, v4, v12
	v_fmac_f16_e32 v15, 0xb8b4, v7
	v_fmac_f16_e32 v11, 0x38b4, v8
	;; [unrolled: 1-line block ×4, first 2 shown]
	v_add_f16_e32 v4, v4, v14
	v_fmac_f16_e32 v15, 0x34f2, v2
	v_fmac_f16_e32 v11, 0x34f2, v13
	;; [unrolled: 1-line block ×4, first 2 shown]
	v_pack_b32_f16 v2, v4, v3
	v_pack_b32_f16 v0, v15, v0
	v_add_nc_u32_e32 v3, 0x280, v6
	v_pack_b32_f16 v1, v10, v1
	v_pack_b32_f16 v4, v11, v5
	v_add_nc_u32_e32 v5, 0x980, v6
	v_pack_b32_f16 v7, v16, v18
	ds_store_2addr_b32 v3, v2, v0 offset0:10 offset1:231
	ds_store_2addr_b32 v5, v1, v4 offset0:4 offset1:225
	ds_store_b32 v6, v7 offset:4216
.LBB0_21:
	s_wait_alu 0xfffe
	s_or_b32 exec_lo, exec_lo, s1
	global_wb scope:SCOPE_SE
	s_wait_dscnt 0x0
	s_barrier_signal -1
	s_barrier_wait -1
	global_inv scope:SCOPE_SE
	s_and_b32 exec_lo, exec_lo, vcc_lo
	s_cbranch_execz .LBB0_23
; %bb.22:
	global_load_b32 v0, v43, s[8:9]
	ds_load_b32 v1, v55
	s_mov_b32 s10, 0x1da7801e
	s_mov_b32 s11, 0x3f4da780
	v_mad_co_u64_u32 v[7:8], null, s4, v44, 0
	s_wait_dscnt 0x0
	v_lshrrev_b32_e32 v2, 16, v1
	s_wait_loadcnt 0x0
	v_lshrrev_b32_e32 v3, 16, v0
	s_delay_alu instid0(VALU_DEP_1) | instskip(SKIP_1) | instid1(VALU_DEP_2)
	v_mul_f16_e32 v4, v2, v3
	v_mul_f16_e32 v3, v1, v3
	v_fmac_f16_e32 v4, v1, v0
	s_delay_alu instid0(VALU_DEP_2) | instskip(NEXT) | instid1(VALU_DEP_2)
	v_fma_f16 v0, v0, v2, -v3
	v_cvt_f32_f16_e32 v1, v4
	s_delay_alu instid0(VALU_DEP_2) | instskip(SKIP_1) | instid1(VALU_DEP_3)
	v_cvt_f32_f16_e32 v2, v0
	v_mad_co_u64_u32 v[4:5], null, s6, v24, 0
	v_cvt_f64_f32_e32 v[0:1], v1
	s_delay_alu instid0(VALU_DEP_3) | instskip(SKIP_1) | instid1(VALU_DEP_2)
	v_cvt_f64_f32_e32 v[2:3], v2
	s_wait_alu 0xfffe
	v_mul_f64_e32 v[0:1], s[10:11], v[0:1]
	s_delay_alu instid0(VALU_DEP_2) | instskip(NEXT) | instid1(VALU_DEP_2)
	v_mul_f64_e32 v[2:3], s[10:11], v[2:3]
	v_and_or_b32 v0, 0x1ff, v1, v0
	s_delay_alu instid0(VALU_DEP_2)
	v_and_or_b32 v2, 0x1ff, v3, v2
	v_lshrrev_b32_e32 v9, 8, v1
	v_bfe_u32 v11, v1, 20, 11
	v_lshrrev_b32_e32 v10, 8, v3
	v_cmp_ne_u32_e32 vcc_lo, 0, v0
	v_bfe_u32 v12, v3, 20, 11
	v_mov_b32_e32 v0, v8
	v_sub_nc_u32_e32 v14, 0x3f1, v11
	v_lshrrev_b32_e32 v3, 16, v3
	v_cndmask_b32_e64 v13, 0, 1, vcc_lo
	v_cmp_ne_u32_e32 vcc_lo, 0, v2
	v_sub_nc_u32_e32 v15, 0x3f1, v12
	v_med3_i32 v14, v14, 0, 13
	s_delay_alu instid0(VALU_DEP_4)
	v_and_or_b32 v13, 0xffe, v9, v13
	s_wait_alu 0xfffd
	v_cndmask_b32_e64 v2, 0, 1, vcc_lo
	v_mad_co_u64_u32 v[8:9], null, s7, v24, v[5:6]
	v_med3_i32 v15, v15, 0, 13
	v_or_b32_e32 v16, 0x1000, v13
	s_delay_alu instid0(VALU_DEP_4) | instskip(NEXT) | instid1(VALU_DEP_4)
	v_and_or_b32 v2, 0xffe, v10, v2
	v_mov_b32_e32 v5, v8
	s_delay_alu instid0(VALU_DEP_2) | instskip(SKIP_2) | instid1(VALU_DEP_4)
	v_or_b32_e32 v17, 0x1000, v2
	v_mad_co_u64_u32 v[9:10], null, s5, v44, v[0:1]
	v_lshrrev_b32_e32 v0, v14, v16
	v_lshlrev_b64_e32 v[4:5], 2, v[4:5]
	s_delay_alu instid0(VALU_DEP_4) | instskip(SKIP_1) | instid1(VALU_DEP_3)
	v_lshrrev_b32_e32 v10, v15, v17
	s_mul_u64 s[4:5], s[4:5], 0x104
	v_lshlrev_b32_e32 v14, v14, v0
	s_delay_alu instid0(VALU_DEP_2) | instskip(NEXT) | instid1(VALU_DEP_2)
	v_dual_mov_b32 v8, v9 :: v_dual_lshlrev_b32 v9, v15, v10
	v_cmp_ne_u32_e32 vcc_lo, v14, v16
	s_wait_alu 0xfffd
	v_cndmask_b32_e64 v14, 0, 1, vcc_lo
	s_delay_alu instid0(VALU_DEP_3) | instskip(NEXT) | instid1(VALU_DEP_2)
	v_cmp_ne_u32_e32 vcc_lo, v9, v17
	v_or_b32_e32 v0, v0, v14
	v_add_nc_u32_e32 v11, 0xfffffc10, v11
	s_wait_alu 0xfffd
	v_cndmask_b32_e64 v9, 0, 1, vcc_lo
	s_delay_alu instid0(VALU_DEP_2) | instskip(NEXT) | instid1(VALU_DEP_2)
	v_lshl_or_b32 v15, v11, 12, v13
	v_or_b32_e32 v9, v10, v9
	v_add_nc_u32_e32 v12, 0xfffffc10, v12
	v_cmp_gt_i32_e32 vcc_lo, 1, v11
	v_lshrrev_b32_e32 v10, 16, v1
	s_delay_alu instid0(VALU_DEP_3)
	v_lshl_or_b32 v14, v12, 12, v2
	s_wait_alu 0xfffd
	v_cndmask_b32_e32 v0, v15, v0, vcc_lo
	v_cmp_gt_i32_e32 vcc_lo, 1, v12
	s_wait_alu 0xfffd
	v_cndmask_b32_e32 v1, v14, v9, vcc_lo
	v_cmp_ne_u32_e32 vcc_lo, 0, v13
	v_and_b32_e32 v13, 7, v0
	v_lshrrev_b32_e32 v0, 2, v0
	s_delay_alu instid0(VALU_DEP_4)
	v_and_b32_e32 v14, 7, v1
	s_wait_alu 0xfffd
	v_cndmask_b32_e64 v9, 0, 1, vcc_lo
	v_cmp_ne_u32_e32 vcc_lo, 0, v2
	v_cmp_eq_u32_e64 s0, 3, v13
	v_lshrrev_b32_e32 v1, 2, v1
	v_cmp_lt_i32_e64 s1, 5, v14
	v_cmp_eq_u32_e64 s2, 3, v14
	s_wait_alu 0xfffd
	v_cndmask_b32_e64 v2, 0, 1, vcc_lo
	v_cmp_lt_i32_e32 vcc_lo, 5, v13
	v_lshl_or_b32 v9, v9, 9, 0x7c00
	s_delay_alu instid0(VALU_DEP_3)
	v_lshl_or_b32 v2, v2, 9, 0x7c00
	s_or_b32 vcc_lo, s0, vcc_lo
	s_wait_alu 0xfffe
	v_add_co_ci_u32_e32 v0, vcc_lo, 0, v0, vcc_lo
	s_or_b32 vcc_lo, s2, s1
	s_wait_alu 0xfffe
	v_add_co_ci_u32_e32 v1, vcc_lo, 0, v1, vcc_lo
	v_cmp_gt_i32_e32 vcc_lo, 31, v11
	s_wait_alu 0xfffd
	v_cndmask_b32_e32 v0, 0x7c00, v0, vcc_lo
	v_cmp_gt_i32_e32 vcc_lo, 31, v12
	s_wait_alu 0xfffd
	v_cndmask_b32_e32 v13, 0x7c00, v1, vcc_lo
	v_cmp_eq_u32_e32 vcc_lo, 0x40f, v11
	s_wait_alu 0xfffd
	v_cndmask_b32_e32 v9, v0, v9, vcc_lo
	v_cmp_eq_u32_e32 vcc_lo, 0x40f, v12
	v_lshlrev_b64_e32 v[0:1], 2, v[7:8]
	s_wait_alu 0xfffd
	v_cndmask_b32_e32 v2, v13, v2, vcc_lo
	v_and_or_b32 v7, 0x8000, v10, v9
	v_add_co_u32 v4, vcc_lo, s12, v4
	s_wait_alu 0xfffd
	v_add_co_ci_u32_e32 v5, vcc_lo, s13, v5, vcc_lo
	v_and_or_b32 v2, 0x8000, v3, v2
	v_and_b32_e32 v3, 0xffff, v7
	v_add_co_u32 v0, vcc_lo, v4, v0
	s_wait_alu 0xfffd
	v_add_co_ci_u32_e32 v1, vcc_lo, v5, v1, vcc_lo
	s_delay_alu instid0(VALU_DEP_3)
	v_lshl_or_b32 v2, v2, 16, v3
	global_store_b32 v[0:1], v2, off
	global_load_b32 v4, v43, s[8:9] offset:260
	ds_load_2addr_b32 v[2:3], v6 offset0:65 offset1:130
	s_wait_dscnt 0x0
	v_lshrrev_b32_e32 v5, 16, v2
	s_wait_loadcnt 0x0
	v_lshrrev_b32_e32 v7, 16, v4
	s_delay_alu instid0(VALU_DEP_1) | instskip(SKIP_1) | instid1(VALU_DEP_2)
	v_mul_f16_e32 v8, v5, v7
	v_mul_f16_e32 v7, v2, v7
	v_fmac_f16_e32 v8, v2, v4
	s_delay_alu instid0(VALU_DEP_2) | instskip(NEXT) | instid1(VALU_DEP_2)
	v_fma_f16 v2, v4, v5, -v7
	v_cvt_f32_f16_e32 v4, v8
	s_delay_alu instid0(VALU_DEP_2) | instskip(NEXT) | instid1(VALU_DEP_2)
	v_cvt_f32_f16_e32 v2, v2
	v_cvt_f64_f32_e32 v[4:5], v4
	s_delay_alu instid0(VALU_DEP_2) | instskip(NEXT) | instid1(VALU_DEP_2)
	v_cvt_f64_f32_e32 v[7:8], v2
	v_mul_f64_e32 v[4:5], s[10:11], v[4:5]
	s_delay_alu instid0(VALU_DEP_2) | instskip(NEXT) | instid1(VALU_DEP_2)
	v_mul_f64_e32 v[7:8], s[10:11], v[7:8]
	v_and_or_b32 v2, 0x1ff, v5, v4
	s_delay_alu instid0(VALU_DEP_2)
	v_and_or_b32 v7, 0x1ff, v8, v7
	v_lshrrev_b32_e32 v4, 8, v5
	v_bfe_u32 v9, v5, 20, 11
	v_lshrrev_b32_e32 v10, 8, v8
	v_cmp_ne_u32_e32 vcc_lo, 0, v2
	v_bfe_u32 v11, v8, 20, 11
	v_lshrrev_b32_e32 v5, 16, v5
	v_sub_nc_u32_e32 v12, 0x3f1, v9
	v_add_nc_u32_e32 v9, 0xfffffc10, v9
	s_wait_alu 0xfffd
	v_cndmask_b32_e64 v2, 0, 1, vcc_lo
	v_cmp_ne_u32_e32 vcc_lo, 0, v7
	v_lshrrev_b32_e32 v8, 16, v8
	s_delay_alu instid0(VALU_DEP_3) | instskip(SKIP_4) | instid1(VALU_DEP_3)
	v_and_or_b32 v2, 0xffe, v4, v2
	s_wait_alu 0xfffd
	v_cndmask_b32_e64 v7, 0, 1, vcc_lo
	v_sub_nc_u32_e32 v4, 0x3f1, v11
	v_add_nc_u32_e32 v11, 0xfffffc10, v11
	v_and_or_b32 v7, 0xffe, v10, v7
	v_med3_i32 v10, v12, 0, 13
	v_or_b32_e32 v12, 0x1000, v2
	v_med3_i32 v4, v4, 0, 13
	s_delay_alu instid0(VALU_DEP_4) | instskip(NEXT) | instid1(VALU_DEP_3)
	v_or_b32_e32 v13, 0x1000, v7
	v_lshrrev_b32_e32 v14, v10, v12
	s_delay_alu instid0(VALU_DEP_2) | instskip(NEXT) | instid1(VALU_DEP_2)
	v_lshrrev_b32_e32 v15, v4, v13
	v_lshlrev_b32_e32 v10, v10, v14
	s_delay_alu instid0(VALU_DEP_2) | instskip(NEXT) | instid1(VALU_DEP_2)
	v_lshlrev_b32_e32 v4, v4, v15
	v_cmp_ne_u32_e32 vcc_lo, v10, v12
	v_lshl_or_b32 v12, v9, 12, v2
	s_wait_alu 0xfffd
	v_cndmask_b32_e64 v10, 0, 1, vcc_lo
	v_cmp_ne_u32_e32 vcc_lo, v4, v13
	v_lshl_or_b32 v13, v11, 12, v7
	s_delay_alu instid0(VALU_DEP_3) | instskip(SKIP_3) | instid1(VALU_DEP_2)
	v_or_b32_e32 v10, v14, v10
	s_wait_alu 0xfffd
	v_cndmask_b32_e64 v4, 0, 1, vcc_lo
	v_cmp_gt_i32_e32 vcc_lo, 1, v9
	v_or_b32_e32 v4, v15, v4
	s_wait_alu 0xfffd
	v_cndmask_b32_e32 v10, v12, v10, vcc_lo
	v_cmp_gt_i32_e32 vcc_lo, 1, v11
	s_delay_alu instid0(VALU_DEP_2)
	v_and_b32_e32 v12, 7, v10
	s_wait_alu 0xfffd
	v_cndmask_b32_e32 v4, v13, v4, vcc_lo
	v_cmp_ne_u32_e32 vcc_lo, 0, v2
	v_lshrrev_b32_e32 v10, 2, v10
	v_cmp_eq_u32_e64 s0, 3, v12
	s_wait_alu 0xfffd
	v_cndmask_b32_e64 v2, 0, 1, vcc_lo
	v_cmp_ne_u32_e32 vcc_lo, 0, v7
	s_delay_alu instid0(VALU_DEP_2) | instskip(SKIP_3) | instid1(VALU_DEP_2)
	v_lshl_or_b32 v2, v2, 9, 0x7c00
	s_wait_alu 0xfffd
	v_cndmask_b32_e64 v7, 0, 1, vcc_lo
	v_cmp_lt_i32_e32 vcc_lo, 5, v12
	v_lshl_or_b32 v7, v7, 9, 0x7c00
	s_or_b32 vcc_lo, s0, vcc_lo
	s_wait_alu 0xfffe
	v_add_co_ci_u32_e32 v10, vcc_lo, 0, v10, vcc_lo
	v_and_b32_e32 v13, 7, v4
	v_lshrrev_b32_e32 v4, 2, v4
	s_delay_alu instid0(VALU_DEP_2) | instskip(SKIP_1) | instid1(VALU_DEP_1)
	v_cmp_lt_i32_e64 s1, 5, v13
	v_cmp_eq_u32_e64 s2, 3, v13
	s_or_b32 vcc_lo, s2, s1
	s_wait_alu 0xfffe
	v_add_co_ci_u32_e32 v4, vcc_lo, 0, v4, vcc_lo
	v_cmp_gt_i32_e32 vcc_lo, 31, v9
	s_wait_alu 0xfffd
	v_cndmask_b32_e32 v10, 0x7c00, v10, vcc_lo
	v_cmp_gt_i32_e32 vcc_lo, 31, v11
	s_wait_alu 0xfffd
	v_cndmask_b32_e32 v4, 0x7c00, v4, vcc_lo
	v_cmp_eq_u32_e32 vcc_lo, 0x40f, v9
	s_wait_alu 0xfffd
	v_cndmask_b32_e32 v2, v10, v2, vcc_lo
	v_cmp_eq_u32_e32 vcc_lo, 0x40f, v11
	s_delay_alu instid0(VALU_DEP_2)
	v_and_or_b32 v2, 0x8000, v5, v2
	s_wait_alu 0xfffd
	v_cndmask_b32_e32 v4, v4, v7, vcc_lo
	v_add_co_u32 v0, vcc_lo, v0, s4
	s_wait_alu 0xfffd
	v_add_co_ci_u32_e32 v1, vcc_lo, s5, v1, vcc_lo
	s_delay_alu instid0(VALU_DEP_3) | instskip(SKIP_1) | instid1(VALU_DEP_1)
	v_and_or_b32 v4, 0x8000, v8, v4
	v_and_b32_e32 v2, 0xffff, v2
	v_lshl_or_b32 v2, v4, 16, v2
	v_lshrrev_b32_e32 v4, 16, v3
	global_store_b32 v[0:1], v2, off
	global_load_b32 v2, v43, s[8:9] offset:520
	s_wait_loadcnt 0x0
	v_lshrrev_b32_e32 v5, 16, v2
	s_delay_alu instid0(VALU_DEP_1) | instskip(SKIP_1) | instid1(VALU_DEP_2)
	v_mul_f16_e32 v7, v4, v5
	v_mul_f16_e32 v5, v3, v5
	v_fmac_f16_e32 v7, v3, v2
	s_delay_alu instid0(VALU_DEP_2) | instskip(NEXT) | instid1(VALU_DEP_2)
	v_fma_f16 v2, v2, v4, -v5
	v_cvt_f32_f16_e32 v3, v7
	s_delay_alu instid0(VALU_DEP_2) | instskip(NEXT) | instid1(VALU_DEP_2)
	v_cvt_f32_f16_e32 v4, v2
	v_cvt_f64_f32_e32 v[2:3], v3
	s_delay_alu instid0(VALU_DEP_2) | instskip(NEXT) | instid1(VALU_DEP_2)
	v_cvt_f64_f32_e32 v[4:5], v4
	v_mul_f64_e32 v[2:3], s[10:11], v[2:3]
	s_delay_alu instid0(VALU_DEP_2) | instskip(NEXT) | instid1(VALU_DEP_2)
	v_mul_f64_e32 v[4:5], s[10:11], v[4:5]
	v_and_or_b32 v2, 0x1ff, v3, v2
	s_delay_alu instid0(VALU_DEP_2)
	v_and_or_b32 v4, 0x1ff, v5, v4
	v_lshrrev_b32_e32 v7, 8, v3
	v_bfe_u32 v8, v3, 20, 11
	v_lshrrev_b32_e32 v9, 8, v5
	v_cmp_ne_u32_e32 vcc_lo, 0, v2
	v_bfe_u32 v10, v5, 20, 11
	v_lshrrev_b32_e32 v3, 16, v3
	v_sub_nc_u32_e32 v11, 0x3f1, v8
	v_add_nc_u32_e32 v8, 0xfffffc10, v8
	s_wait_alu 0xfffd
	v_cndmask_b32_e64 v2, 0, 1, vcc_lo
	v_cmp_ne_u32_e32 vcc_lo, 0, v4
	v_lshrrev_b32_e32 v5, 16, v5
	s_delay_alu instid0(VALU_DEP_3) | instskip(SKIP_4) | instid1(VALU_DEP_3)
	v_and_or_b32 v2, 0xffe, v7, v2
	s_wait_alu 0xfffd
	v_cndmask_b32_e64 v4, 0, 1, vcc_lo
	v_sub_nc_u32_e32 v7, 0x3f1, v10
	v_add_nc_u32_e32 v10, 0xfffffc10, v10
	v_and_or_b32 v4, 0xffe, v9, v4
	v_med3_i32 v9, v11, 0, 13
	v_or_b32_e32 v11, 0x1000, v2
	v_med3_i32 v7, v7, 0, 13
	s_delay_alu instid0(VALU_DEP_4) | instskip(NEXT) | instid1(VALU_DEP_3)
	v_or_b32_e32 v12, 0x1000, v4
	v_lshrrev_b32_e32 v13, v9, v11
	s_delay_alu instid0(VALU_DEP_2) | instskip(NEXT) | instid1(VALU_DEP_2)
	v_lshrrev_b32_e32 v14, v7, v12
	v_lshlrev_b32_e32 v9, v9, v13
	s_delay_alu instid0(VALU_DEP_2) | instskip(NEXT) | instid1(VALU_DEP_2)
	v_lshlrev_b32_e32 v7, v7, v14
	v_cmp_ne_u32_e32 vcc_lo, v9, v11
	v_lshl_or_b32 v11, v8, 12, v2
	s_wait_alu 0xfffd
	v_cndmask_b32_e64 v9, 0, 1, vcc_lo
	v_cmp_ne_u32_e32 vcc_lo, v7, v12
	v_lshl_or_b32 v12, v10, 12, v4
	s_delay_alu instid0(VALU_DEP_3) | instskip(SKIP_3) | instid1(VALU_DEP_2)
	v_or_b32_e32 v9, v13, v9
	s_wait_alu 0xfffd
	v_cndmask_b32_e64 v7, 0, 1, vcc_lo
	v_cmp_gt_i32_e32 vcc_lo, 1, v8
	v_or_b32_e32 v7, v14, v7
	s_wait_alu 0xfffd
	v_cndmask_b32_e32 v9, v11, v9, vcc_lo
	v_cmp_gt_i32_e32 vcc_lo, 1, v10
	s_delay_alu instid0(VALU_DEP_2)
	v_and_b32_e32 v11, 7, v9
	s_wait_alu 0xfffd
	v_cndmask_b32_e32 v7, v12, v7, vcc_lo
	v_cmp_ne_u32_e32 vcc_lo, 0, v2
	v_lshrrev_b32_e32 v9, 2, v9
	v_cmp_eq_u32_e64 s0, 3, v11
	s_delay_alu instid0(VALU_DEP_4)
	v_and_b32_e32 v12, 7, v7
	s_wait_alu 0xfffd
	v_cndmask_b32_e64 v2, 0, 1, vcc_lo
	v_cmp_ne_u32_e32 vcc_lo, 0, v4
	v_lshrrev_b32_e32 v7, 2, v7
	v_cmp_lt_i32_e64 s1, 5, v12
	v_cmp_eq_u32_e64 s2, 3, v12
	s_wait_alu 0xfffd
	v_cndmask_b32_e64 v4, 0, 1, vcc_lo
	v_cmp_lt_i32_e32 vcc_lo, 5, v11
	v_lshl_or_b32 v2, v2, 9, 0x7c00
	s_delay_alu instid0(VALU_DEP_3)
	v_lshl_or_b32 v4, v4, 9, 0x7c00
	s_or_b32 vcc_lo, s0, vcc_lo
	s_wait_alu 0xfffe
	v_add_co_ci_u32_e32 v9, vcc_lo, 0, v9, vcc_lo
	s_or_b32 vcc_lo, s2, s1
	s_wait_alu 0xfffe
	v_add_co_ci_u32_e32 v7, vcc_lo, 0, v7, vcc_lo
	v_cmp_gt_i32_e32 vcc_lo, 31, v8
	s_wait_alu 0xfffd
	v_cndmask_b32_e32 v9, 0x7c00, v9, vcc_lo
	v_cmp_gt_i32_e32 vcc_lo, 31, v10
	s_wait_alu 0xfffd
	v_cndmask_b32_e32 v7, 0x7c00, v7, vcc_lo
	v_cmp_eq_u32_e32 vcc_lo, 0x40f, v8
	s_wait_alu 0xfffd
	v_cndmask_b32_e32 v2, v9, v2, vcc_lo
	v_cmp_eq_u32_e32 vcc_lo, 0x40f, v10
	s_delay_alu instid0(VALU_DEP_2)
	v_and_or_b32 v2, 0x8000, v3, v2
	s_wait_alu 0xfffd
	v_cndmask_b32_e32 v4, v7, v4, vcc_lo
	v_add_co_u32 v0, vcc_lo, v0, s4
	s_wait_alu 0xfffd
	v_add_co_ci_u32_e32 v1, vcc_lo, s5, v1, vcc_lo
	s_delay_alu instid0(VALU_DEP_3) | instskip(SKIP_1) | instid1(VALU_DEP_1)
	v_and_or_b32 v3, 0x8000, v5, v4
	v_and_b32_e32 v2, 0xffff, v2
	v_lshl_or_b32 v2, v3, 16, v2
	global_store_b32 v[0:1], v2, off
	global_load_b32 v4, v43, s[8:9] offset:780
	v_add_nc_u32_e32 v2, 0x200, v6
	ds_load_2addr_b32 v[2:3], v2 offset0:67 offset1:132
	s_wait_dscnt 0x0
	v_lshrrev_b32_e32 v5, 16, v2
	s_wait_loadcnt 0x0
	v_lshrrev_b32_e32 v7, 16, v4
	s_delay_alu instid0(VALU_DEP_1) | instskip(SKIP_1) | instid1(VALU_DEP_2)
	v_mul_f16_e32 v8, v5, v7
	v_mul_f16_e32 v7, v2, v7
	v_fmac_f16_e32 v8, v2, v4
	s_delay_alu instid0(VALU_DEP_2) | instskip(NEXT) | instid1(VALU_DEP_2)
	v_fma_f16 v2, v4, v5, -v7
	v_cvt_f32_f16_e32 v4, v8
	s_delay_alu instid0(VALU_DEP_2) | instskip(NEXT) | instid1(VALU_DEP_2)
	v_cvt_f32_f16_e32 v2, v2
	v_cvt_f64_f32_e32 v[4:5], v4
	s_delay_alu instid0(VALU_DEP_2) | instskip(NEXT) | instid1(VALU_DEP_2)
	v_cvt_f64_f32_e32 v[7:8], v2
	v_mul_f64_e32 v[4:5], s[10:11], v[4:5]
	s_delay_alu instid0(VALU_DEP_2) | instskip(NEXT) | instid1(VALU_DEP_2)
	v_mul_f64_e32 v[7:8], s[10:11], v[7:8]
	v_and_or_b32 v2, 0x1ff, v5, v4
	s_delay_alu instid0(VALU_DEP_2)
	v_and_or_b32 v7, 0x1ff, v8, v7
	v_lshrrev_b32_e32 v4, 8, v5
	v_bfe_u32 v9, v5, 20, 11
	v_lshrrev_b32_e32 v10, 8, v8
	v_cmp_ne_u32_e32 vcc_lo, 0, v2
	v_bfe_u32 v11, v8, 20, 11
	v_lshrrev_b32_e32 v5, 16, v5
	v_sub_nc_u32_e32 v12, 0x3f1, v9
	v_add_nc_u32_e32 v9, 0xfffffc10, v9
	s_wait_alu 0xfffd
	v_cndmask_b32_e64 v2, 0, 1, vcc_lo
	v_cmp_ne_u32_e32 vcc_lo, 0, v7
	v_lshrrev_b32_e32 v8, 16, v8
	s_delay_alu instid0(VALU_DEP_3) | instskip(SKIP_3) | instid1(VALU_DEP_2)
	v_and_or_b32 v2, 0xffe, v4, v2
	s_wait_alu 0xfffd
	v_cndmask_b32_e64 v7, 0, 1, vcc_lo
	v_sub_nc_u32_e32 v4, 0x3f1, v11
	v_and_or_b32 v7, 0xffe, v10, v7
	v_med3_i32 v10, v12, 0, 13
	v_or_b32_e32 v12, 0x1000, v2
	s_delay_alu instid0(VALU_DEP_4) | instskip(NEXT) | instid1(VALU_DEP_4)
	v_med3_i32 v4, v4, 0, 13
	v_or_b32_e32 v13, 0x1000, v7
	s_delay_alu instid0(VALU_DEP_3) | instskip(NEXT) | instid1(VALU_DEP_2)
	v_lshrrev_b32_e32 v14, v10, v12
	v_lshrrev_b32_e32 v15, v4, v13
	s_delay_alu instid0(VALU_DEP_2) | instskip(NEXT) | instid1(VALU_DEP_2)
	v_lshlrev_b32_e32 v10, v10, v14
	v_lshlrev_b32_e32 v4, v4, v15
	s_delay_alu instid0(VALU_DEP_2) | instskip(SKIP_4) | instid1(VALU_DEP_2)
	v_cmp_ne_u32_e32 vcc_lo, v10, v12
	v_lshl_or_b32 v12, v9, 12, v2
	s_wait_alu 0xfffd
	v_cndmask_b32_e64 v10, 0, 1, vcc_lo
	v_cmp_ne_u32_e32 vcc_lo, v4, v13
	v_or_b32_e32 v10, v14, v10
	s_wait_alu 0xfffd
	v_cndmask_b32_e64 v4, 0, 1, vcc_lo
	v_cmp_gt_i32_e32 vcc_lo, 1, v9
	v_add_nc_u32_e32 v11, 0xfffffc10, v11
	s_delay_alu instid0(VALU_DEP_3) | instskip(SKIP_2) | instid1(VALU_DEP_3)
	v_or_b32_e32 v4, v15, v4
	s_wait_alu 0xfffd
	v_cndmask_b32_e32 v10, v12, v10, vcc_lo
	v_lshl_or_b32 v13, v11, 12, v7
	v_cmp_gt_i32_e32 vcc_lo, 1, v11
	s_delay_alu instid0(VALU_DEP_3)
	v_and_b32_e32 v12, 7, v10
	v_lshrrev_b32_e32 v10, 2, v10
	s_wait_alu 0xfffd
	v_cndmask_b32_e32 v4, v13, v4, vcc_lo
	v_cmp_ne_u32_e32 vcc_lo, 0, v2
	v_cmp_eq_u32_e64 s0, 3, v12
	s_wait_alu 0xfffd
	v_cndmask_b32_e64 v2, 0, 1, vcc_lo
	v_cmp_ne_u32_e32 vcc_lo, 0, v7
	s_delay_alu instid0(VALU_DEP_2) | instskip(SKIP_3) | instid1(VALU_DEP_2)
	v_lshl_or_b32 v2, v2, 9, 0x7c00
	s_wait_alu 0xfffd
	v_cndmask_b32_e64 v7, 0, 1, vcc_lo
	v_cmp_lt_i32_e32 vcc_lo, 5, v12
	v_lshl_or_b32 v7, v7, 9, 0x7c00
	s_or_b32 vcc_lo, s0, vcc_lo
	s_wait_alu 0xfffe
	v_add_co_ci_u32_e32 v10, vcc_lo, 0, v10, vcc_lo
	v_and_b32_e32 v13, 7, v4
	v_lshrrev_b32_e32 v4, 2, v4
	s_delay_alu instid0(VALU_DEP_2) | instskip(SKIP_1) | instid1(VALU_DEP_1)
	v_cmp_lt_i32_e64 s1, 5, v13
	v_cmp_eq_u32_e64 s2, 3, v13
	s_or_b32 vcc_lo, s2, s1
	s_wait_alu 0xfffe
	v_add_co_ci_u32_e32 v4, vcc_lo, 0, v4, vcc_lo
	v_cmp_gt_i32_e32 vcc_lo, 31, v9
	s_wait_alu 0xfffd
	v_cndmask_b32_e32 v10, 0x7c00, v10, vcc_lo
	v_cmp_gt_i32_e32 vcc_lo, 31, v11
	s_wait_alu 0xfffd
	v_cndmask_b32_e32 v4, 0x7c00, v4, vcc_lo
	v_cmp_eq_u32_e32 vcc_lo, 0x40f, v9
	s_wait_alu 0xfffd
	v_cndmask_b32_e32 v2, v10, v2, vcc_lo
	v_cmp_eq_u32_e32 vcc_lo, 0x40f, v11
	s_delay_alu instid0(VALU_DEP_2)
	v_and_or_b32 v2, 0x8000, v5, v2
	s_wait_alu 0xfffd
	v_cndmask_b32_e32 v4, v4, v7, vcc_lo
	v_add_co_u32 v0, vcc_lo, v0, s4
	s_wait_alu 0xfffd
	v_add_co_ci_u32_e32 v1, vcc_lo, s5, v1, vcc_lo
	s_delay_alu instid0(VALU_DEP_3) | instskip(SKIP_1) | instid1(VALU_DEP_1)
	v_and_or_b32 v4, 0x8000, v8, v4
	v_and_b32_e32 v2, 0xffff, v2
	v_lshl_or_b32 v2, v4, 16, v2
	v_lshrrev_b32_e32 v4, 16, v3
	global_store_b32 v[0:1], v2, off
	global_load_b32 v2, v43, s[8:9] offset:1040
	s_wait_loadcnt 0x0
	v_lshrrev_b32_e32 v5, 16, v2
	s_delay_alu instid0(VALU_DEP_1) | instskip(SKIP_1) | instid1(VALU_DEP_2)
	v_mul_f16_e32 v7, v4, v5
	v_mul_f16_e32 v5, v3, v5
	v_fmac_f16_e32 v7, v3, v2
	s_delay_alu instid0(VALU_DEP_2) | instskip(NEXT) | instid1(VALU_DEP_2)
	v_fma_f16 v2, v2, v4, -v5
	v_cvt_f32_f16_e32 v3, v7
	s_delay_alu instid0(VALU_DEP_2) | instskip(NEXT) | instid1(VALU_DEP_2)
	v_cvt_f32_f16_e32 v4, v2
	v_cvt_f64_f32_e32 v[2:3], v3
	s_delay_alu instid0(VALU_DEP_2) | instskip(NEXT) | instid1(VALU_DEP_2)
	v_cvt_f64_f32_e32 v[4:5], v4
	v_mul_f64_e32 v[2:3], s[10:11], v[2:3]
	s_delay_alu instid0(VALU_DEP_2) | instskip(NEXT) | instid1(VALU_DEP_2)
	v_mul_f64_e32 v[4:5], s[10:11], v[4:5]
	v_and_or_b32 v2, 0x1ff, v3, v2
	s_delay_alu instid0(VALU_DEP_2)
	v_and_or_b32 v4, 0x1ff, v5, v4
	v_lshrrev_b32_e32 v7, 8, v3
	v_bfe_u32 v8, v3, 20, 11
	v_lshrrev_b32_e32 v9, 8, v5
	v_cmp_ne_u32_e32 vcc_lo, 0, v2
	v_bfe_u32 v10, v5, 20, 11
	v_lshrrev_b32_e32 v3, 16, v3
	v_sub_nc_u32_e32 v11, 0x3f1, v8
	v_add_nc_u32_e32 v8, 0xfffffc10, v8
	s_wait_alu 0xfffd
	v_cndmask_b32_e64 v2, 0, 1, vcc_lo
	v_cmp_ne_u32_e32 vcc_lo, 0, v4
	v_lshrrev_b32_e32 v5, 16, v5
	s_delay_alu instid0(VALU_DEP_3) | instskip(SKIP_4) | instid1(VALU_DEP_3)
	v_and_or_b32 v2, 0xffe, v7, v2
	s_wait_alu 0xfffd
	v_cndmask_b32_e64 v4, 0, 1, vcc_lo
	v_sub_nc_u32_e32 v7, 0x3f1, v10
	v_add_nc_u32_e32 v10, 0xfffffc10, v10
	v_and_or_b32 v4, 0xffe, v9, v4
	v_med3_i32 v9, v11, 0, 13
	v_or_b32_e32 v11, 0x1000, v2
	v_med3_i32 v7, v7, 0, 13
	s_delay_alu instid0(VALU_DEP_4) | instskip(NEXT) | instid1(VALU_DEP_3)
	v_or_b32_e32 v12, 0x1000, v4
	v_lshrrev_b32_e32 v13, v9, v11
	s_delay_alu instid0(VALU_DEP_2) | instskip(NEXT) | instid1(VALU_DEP_2)
	v_lshrrev_b32_e32 v14, v7, v12
	v_lshlrev_b32_e32 v9, v9, v13
	s_delay_alu instid0(VALU_DEP_2) | instskip(NEXT) | instid1(VALU_DEP_2)
	v_lshlrev_b32_e32 v7, v7, v14
	v_cmp_ne_u32_e32 vcc_lo, v9, v11
	v_lshl_or_b32 v11, v8, 12, v2
	s_wait_alu 0xfffd
	v_cndmask_b32_e64 v9, 0, 1, vcc_lo
	v_cmp_ne_u32_e32 vcc_lo, v7, v12
	v_lshl_or_b32 v12, v10, 12, v4
	s_delay_alu instid0(VALU_DEP_3) | instskip(SKIP_3) | instid1(VALU_DEP_2)
	v_or_b32_e32 v9, v13, v9
	s_wait_alu 0xfffd
	v_cndmask_b32_e64 v7, 0, 1, vcc_lo
	v_cmp_gt_i32_e32 vcc_lo, 1, v8
	v_or_b32_e32 v7, v14, v7
	s_wait_alu 0xfffd
	v_cndmask_b32_e32 v9, v11, v9, vcc_lo
	v_cmp_gt_i32_e32 vcc_lo, 1, v10
	s_delay_alu instid0(VALU_DEP_2)
	v_and_b32_e32 v11, 7, v9
	s_wait_alu 0xfffd
	v_cndmask_b32_e32 v7, v12, v7, vcc_lo
	v_cmp_ne_u32_e32 vcc_lo, 0, v2
	v_lshrrev_b32_e32 v9, 2, v9
	v_cmp_eq_u32_e64 s0, 3, v11
	s_delay_alu instid0(VALU_DEP_4)
	v_and_b32_e32 v12, 7, v7
	s_wait_alu 0xfffd
	v_cndmask_b32_e64 v2, 0, 1, vcc_lo
	v_cmp_ne_u32_e32 vcc_lo, 0, v4
	v_lshrrev_b32_e32 v7, 2, v7
	v_cmp_lt_i32_e64 s1, 5, v12
	v_cmp_eq_u32_e64 s2, 3, v12
	s_wait_alu 0xfffd
	v_cndmask_b32_e64 v4, 0, 1, vcc_lo
	v_cmp_lt_i32_e32 vcc_lo, 5, v11
	v_lshl_or_b32 v2, v2, 9, 0x7c00
	s_delay_alu instid0(VALU_DEP_3)
	v_lshl_or_b32 v4, v4, 9, 0x7c00
	s_or_b32 vcc_lo, s0, vcc_lo
	s_wait_alu 0xfffe
	v_add_co_ci_u32_e32 v9, vcc_lo, 0, v9, vcc_lo
	s_or_b32 vcc_lo, s2, s1
	s_wait_alu 0xfffe
	v_add_co_ci_u32_e32 v7, vcc_lo, 0, v7, vcc_lo
	v_cmp_gt_i32_e32 vcc_lo, 31, v8
	s_wait_alu 0xfffd
	v_cndmask_b32_e32 v9, 0x7c00, v9, vcc_lo
	v_cmp_gt_i32_e32 vcc_lo, 31, v10
	s_wait_alu 0xfffd
	v_cndmask_b32_e32 v7, 0x7c00, v7, vcc_lo
	v_cmp_eq_u32_e32 vcc_lo, 0x40f, v8
	s_wait_alu 0xfffd
	v_cndmask_b32_e32 v2, v9, v2, vcc_lo
	v_cmp_eq_u32_e32 vcc_lo, 0x40f, v10
	s_delay_alu instid0(VALU_DEP_2)
	v_and_or_b32 v2, 0x8000, v3, v2
	s_wait_alu 0xfffd
	v_cndmask_b32_e32 v4, v7, v4, vcc_lo
	v_add_co_u32 v0, vcc_lo, v0, s4
	s_wait_alu 0xfffd
	v_add_co_ci_u32_e32 v1, vcc_lo, s5, v1, vcc_lo
	s_delay_alu instid0(VALU_DEP_3) | instskip(SKIP_1) | instid1(VALU_DEP_1)
	v_and_or_b32 v3, 0x8000, v5, v4
	v_and_b32_e32 v2, 0xffff, v2
	v_lshl_or_b32 v2, v3, 16, v2
	global_store_b32 v[0:1], v2, off
	global_load_b32 v4, v43, s[8:9] offset:1300
	v_add_nc_u32_e32 v2, 0x400, v6
	ds_load_2addr_b32 v[2:3], v2 offset0:69 offset1:134
	s_wait_dscnt 0x0
	v_lshrrev_b32_e32 v5, 16, v2
	s_wait_loadcnt 0x0
	v_lshrrev_b32_e32 v7, 16, v4
	s_delay_alu instid0(VALU_DEP_1) | instskip(SKIP_1) | instid1(VALU_DEP_2)
	v_mul_f16_e32 v8, v5, v7
	v_mul_f16_e32 v7, v2, v7
	v_fmac_f16_e32 v8, v2, v4
	s_delay_alu instid0(VALU_DEP_2) | instskip(NEXT) | instid1(VALU_DEP_2)
	v_fma_f16 v2, v4, v5, -v7
	v_cvt_f32_f16_e32 v4, v8
	s_delay_alu instid0(VALU_DEP_2) | instskip(NEXT) | instid1(VALU_DEP_2)
	v_cvt_f32_f16_e32 v2, v2
	v_cvt_f64_f32_e32 v[4:5], v4
	s_delay_alu instid0(VALU_DEP_2) | instskip(NEXT) | instid1(VALU_DEP_2)
	v_cvt_f64_f32_e32 v[7:8], v2
	v_mul_f64_e32 v[4:5], s[10:11], v[4:5]
	s_delay_alu instid0(VALU_DEP_2) | instskip(NEXT) | instid1(VALU_DEP_2)
	v_mul_f64_e32 v[7:8], s[10:11], v[7:8]
	v_and_or_b32 v2, 0x1ff, v5, v4
	s_delay_alu instid0(VALU_DEP_2)
	v_and_or_b32 v7, 0x1ff, v8, v7
	v_lshrrev_b32_e32 v4, 8, v5
	v_bfe_u32 v9, v5, 20, 11
	v_lshrrev_b32_e32 v10, 8, v8
	v_cmp_ne_u32_e32 vcc_lo, 0, v2
	v_bfe_u32 v11, v8, 20, 11
	v_lshrrev_b32_e32 v5, 16, v5
	v_sub_nc_u32_e32 v12, 0x3f1, v9
	v_add_nc_u32_e32 v9, 0xfffffc10, v9
	s_wait_alu 0xfffd
	v_cndmask_b32_e64 v2, 0, 1, vcc_lo
	v_cmp_ne_u32_e32 vcc_lo, 0, v7
	v_lshrrev_b32_e32 v8, 16, v8
	s_delay_alu instid0(VALU_DEP_3) | instskip(SKIP_4) | instid1(VALU_DEP_3)
	v_and_or_b32 v2, 0xffe, v4, v2
	s_wait_alu 0xfffd
	v_cndmask_b32_e64 v7, 0, 1, vcc_lo
	v_sub_nc_u32_e32 v4, 0x3f1, v11
	v_add_nc_u32_e32 v11, 0xfffffc10, v11
	v_and_or_b32 v7, 0xffe, v10, v7
	v_med3_i32 v10, v12, 0, 13
	v_or_b32_e32 v12, 0x1000, v2
	v_med3_i32 v4, v4, 0, 13
	s_delay_alu instid0(VALU_DEP_4) | instskip(NEXT) | instid1(VALU_DEP_3)
	v_or_b32_e32 v13, 0x1000, v7
	v_lshrrev_b32_e32 v14, v10, v12
	s_delay_alu instid0(VALU_DEP_2) | instskip(NEXT) | instid1(VALU_DEP_2)
	v_lshrrev_b32_e32 v15, v4, v13
	v_lshlrev_b32_e32 v10, v10, v14
	s_delay_alu instid0(VALU_DEP_2) | instskip(NEXT) | instid1(VALU_DEP_2)
	v_lshlrev_b32_e32 v4, v4, v15
	v_cmp_ne_u32_e32 vcc_lo, v10, v12
	v_lshl_or_b32 v12, v9, 12, v2
	s_wait_alu 0xfffd
	v_cndmask_b32_e64 v10, 0, 1, vcc_lo
	v_cmp_ne_u32_e32 vcc_lo, v4, v13
	v_lshl_or_b32 v13, v11, 12, v7
	s_delay_alu instid0(VALU_DEP_3) | instskip(SKIP_3) | instid1(VALU_DEP_2)
	v_or_b32_e32 v10, v14, v10
	s_wait_alu 0xfffd
	v_cndmask_b32_e64 v4, 0, 1, vcc_lo
	v_cmp_gt_i32_e32 vcc_lo, 1, v9
	v_or_b32_e32 v4, v15, v4
	s_wait_alu 0xfffd
	v_cndmask_b32_e32 v10, v12, v10, vcc_lo
	v_cmp_gt_i32_e32 vcc_lo, 1, v11
	s_wait_alu 0xfffd
	v_cndmask_b32_e32 v4, v13, v4, vcc_lo
	v_cmp_ne_u32_e32 vcc_lo, 0, v2
	s_delay_alu instid0(VALU_DEP_2)
	v_and_b32_e32 v13, 7, v4
	s_wait_alu 0xfffd
	v_cndmask_b32_e64 v2, 0, 1, vcc_lo
	v_and_b32_e32 v12, 7, v10
	v_cmp_ne_u32_e32 vcc_lo, 0, v7
	v_lshrrev_b32_e32 v10, 2, v10
	v_cmp_lt_i32_e64 s1, 5, v13
	v_cmp_eq_u32_e64 s2, 3, v13
	v_cmp_eq_u32_e64 s0, 3, v12
	s_wait_alu 0xfffd
	v_cndmask_b32_e64 v7, 0, 1, vcc_lo
	v_cmp_lt_i32_e32 vcc_lo, 5, v12
	v_lshrrev_b32_e32 v4, 2, v4
	v_lshl_or_b32 v2, v2, 9, 0x7c00
	s_delay_alu instid0(VALU_DEP_4)
	v_lshl_or_b32 v7, v7, 9, 0x7c00
	s_or_b32 vcc_lo, s0, vcc_lo
	s_wait_alu 0xfffe
	v_add_co_ci_u32_e32 v10, vcc_lo, 0, v10, vcc_lo
	s_or_b32 vcc_lo, s2, s1
	s_wait_alu 0xfffe
	v_add_co_ci_u32_e32 v4, vcc_lo, 0, v4, vcc_lo
	v_cmp_gt_i32_e32 vcc_lo, 31, v9
	s_wait_alu 0xfffd
	v_cndmask_b32_e32 v10, 0x7c00, v10, vcc_lo
	v_cmp_gt_i32_e32 vcc_lo, 31, v11
	s_wait_alu 0xfffd
	v_cndmask_b32_e32 v4, 0x7c00, v4, vcc_lo
	v_cmp_eq_u32_e32 vcc_lo, 0x40f, v9
	s_wait_alu 0xfffd
	v_cndmask_b32_e32 v2, v10, v2, vcc_lo
	v_cmp_eq_u32_e32 vcc_lo, 0x40f, v11
	s_delay_alu instid0(VALU_DEP_2)
	v_and_or_b32 v2, 0x8000, v5, v2
	s_wait_alu 0xfffd
	v_cndmask_b32_e32 v4, v4, v7, vcc_lo
	v_add_co_u32 v0, vcc_lo, v0, s4
	s_wait_alu 0xfffd
	v_add_co_ci_u32_e32 v1, vcc_lo, s5, v1, vcc_lo
	s_delay_alu instid0(VALU_DEP_3) | instskip(SKIP_1) | instid1(VALU_DEP_1)
	v_and_or_b32 v4, 0x8000, v8, v4
	v_and_b32_e32 v2, 0xffff, v2
	v_lshl_or_b32 v2, v4, 16, v2
	v_lshrrev_b32_e32 v4, 16, v3
	global_store_b32 v[0:1], v2, off
	global_load_b32 v2, v43, s[8:9] offset:1560
	s_wait_loadcnt 0x0
	v_lshrrev_b32_e32 v5, 16, v2
	s_delay_alu instid0(VALU_DEP_1) | instskip(SKIP_1) | instid1(VALU_DEP_2)
	v_mul_f16_e32 v7, v4, v5
	v_mul_f16_e32 v5, v3, v5
	v_fmac_f16_e32 v7, v3, v2
	s_delay_alu instid0(VALU_DEP_2) | instskip(NEXT) | instid1(VALU_DEP_2)
	v_fma_f16 v2, v2, v4, -v5
	v_cvt_f32_f16_e32 v3, v7
	s_delay_alu instid0(VALU_DEP_2) | instskip(NEXT) | instid1(VALU_DEP_2)
	v_cvt_f32_f16_e32 v4, v2
	v_cvt_f64_f32_e32 v[2:3], v3
	s_delay_alu instid0(VALU_DEP_2) | instskip(NEXT) | instid1(VALU_DEP_2)
	v_cvt_f64_f32_e32 v[4:5], v4
	v_mul_f64_e32 v[2:3], s[10:11], v[2:3]
	s_delay_alu instid0(VALU_DEP_2) | instskip(NEXT) | instid1(VALU_DEP_2)
	v_mul_f64_e32 v[4:5], s[10:11], v[4:5]
	v_and_or_b32 v2, 0x1ff, v3, v2
	s_delay_alu instid0(VALU_DEP_2)
	v_and_or_b32 v4, 0x1ff, v5, v4
	v_lshrrev_b32_e32 v7, 8, v3
	v_bfe_u32 v8, v3, 20, 11
	v_lshrrev_b32_e32 v9, 8, v5
	v_cmp_ne_u32_e32 vcc_lo, 0, v2
	v_bfe_u32 v10, v5, 20, 11
	v_lshrrev_b32_e32 v3, 16, v3
	v_sub_nc_u32_e32 v11, 0x3f1, v8
	v_add_nc_u32_e32 v8, 0xfffffc10, v8
	s_wait_alu 0xfffd
	v_cndmask_b32_e64 v2, 0, 1, vcc_lo
	v_cmp_ne_u32_e32 vcc_lo, 0, v4
	v_lshrrev_b32_e32 v5, 16, v5
	s_delay_alu instid0(VALU_DEP_3) | instskip(SKIP_4) | instid1(VALU_DEP_3)
	v_and_or_b32 v2, 0xffe, v7, v2
	s_wait_alu 0xfffd
	v_cndmask_b32_e64 v4, 0, 1, vcc_lo
	v_sub_nc_u32_e32 v7, 0x3f1, v10
	v_add_nc_u32_e32 v10, 0xfffffc10, v10
	v_and_or_b32 v4, 0xffe, v9, v4
	v_med3_i32 v9, v11, 0, 13
	v_or_b32_e32 v11, 0x1000, v2
	v_med3_i32 v7, v7, 0, 13
	s_delay_alu instid0(VALU_DEP_4) | instskip(NEXT) | instid1(VALU_DEP_3)
	v_or_b32_e32 v12, 0x1000, v4
	v_lshrrev_b32_e32 v13, v9, v11
	s_delay_alu instid0(VALU_DEP_2) | instskip(NEXT) | instid1(VALU_DEP_2)
	v_lshrrev_b32_e32 v14, v7, v12
	v_lshlrev_b32_e32 v9, v9, v13
	s_delay_alu instid0(VALU_DEP_2) | instskip(NEXT) | instid1(VALU_DEP_2)
	v_lshlrev_b32_e32 v7, v7, v14
	v_cmp_ne_u32_e32 vcc_lo, v9, v11
	v_lshl_or_b32 v11, v8, 12, v2
	s_wait_alu 0xfffd
	v_cndmask_b32_e64 v9, 0, 1, vcc_lo
	v_cmp_ne_u32_e32 vcc_lo, v7, v12
	v_lshl_or_b32 v12, v10, 12, v4
	s_delay_alu instid0(VALU_DEP_3) | instskip(SKIP_3) | instid1(VALU_DEP_2)
	v_or_b32_e32 v9, v13, v9
	s_wait_alu 0xfffd
	v_cndmask_b32_e64 v7, 0, 1, vcc_lo
	v_cmp_gt_i32_e32 vcc_lo, 1, v8
	v_or_b32_e32 v7, v14, v7
	s_wait_alu 0xfffd
	v_cndmask_b32_e32 v9, v11, v9, vcc_lo
	v_cmp_gt_i32_e32 vcc_lo, 1, v10
	s_delay_alu instid0(VALU_DEP_2)
	v_and_b32_e32 v11, 7, v9
	s_wait_alu 0xfffd
	v_cndmask_b32_e32 v7, v12, v7, vcc_lo
	v_cmp_ne_u32_e32 vcc_lo, 0, v2
	v_lshrrev_b32_e32 v9, 2, v9
	v_cmp_eq_u32_e64 s0, 3, v11
	s_delay_alu instid0(VALU_DEP_4)
	v_and_b32_e32 v12, 7, v7
	s_wait_alu 0xfffd
	v_cndmask_b32_e64 v2, 0, 1, vcc_lo
	v_cmp_ne_u32_e32 vcc_lo, 0, v4
	v_lshrrev_b32_e32 v7, 2, v7
	v_cmp_lt_i32_e64 s1, 5, v12
	v_cmp_eq_u32_e64 s2, 3, v12
	s_wait_alu 0xfffd
	v_cndmask_b32_e64 v4, 0, 1, vcc_lo
	v_cmp_lt_i32_e32 vcc_lo, 5, v11
	v_lshl_or_b32 v2, v2, 9, 0x7c00
	s_delay_alu instid0(VALU_DEP_3)
	v_lshl_or_b32 v4, v4, 9, 0x7c00
	s_or_b32 vcc_lo, s0, vcc_lo
	s_wait_alu 0xfffe
	v_add_co_ci_u32_e32 v9, vcc_lo, 0, v9, vcc_lo
	s_or_b32 vcc_lo, s2, s1
	s_wait_alu 0xfffe
	v_add_co_ci_u32_e32 v7, vcc_lo, 0, v7, vcc_lo
	v_cmp_gt_i32_e32 vcc_lo, 31, v8
	s_wait_alu 0xfffd
	v_cndmask_b32_e32 v9, 0x7c00, v9, vcc_lo
	v_cmp_gt_i32_e32 vcc_lo, 31, v10
	s_wait_alu 0xfffd
	v_cndmask_b32_e32 v7, 0x7c00, v7, vcc_lo
	v_cmp_eq_u32_e32 vcc_lo, 0x40f, v8
	s_wait_alu 0xfffd
	v_cndmask_b32_e32 v2, v9, v2, vcc_lo
	v_cmp_eq_u32_e32 vcc_lo, 0x40f, v10
	s_delay_alu instid0(VALU_DEP_2)
	v_and_or_b32 v2, 0x8000, v3, v2
	s_wait_alu 0xfffd
	v_cndmask_b32_e32 v4, v7, v4, vcc_lo
	v_add_co_u32 v0, vcc_lo, v0, s4
	s_wait_alu 0xfffd
	v_add_co_ci_u32_e32 v1, vcc_lo, s5, v1, vcc_lo
	s_delay_alu instid0(VALU_DEP_3) | instskip(SKIP_1) | instid1(VALU_DEP_1)
	v_and_or_b32 v3, 0x8000, v5, v4
	v_and_b32_e32 v2, 0xffff, v2
	v_lshl_or_b32 v2, v3, 16, v2
	global_store_b32 v[0:1], v2, off
	global_load_b32 v4, v43, s[8:9] offset:1820
	v_add_nc_u32_e32 v2, 0x600, v6
	ds_load_2addr_b32 v[2:3], v2 offset0:71 offset1:136
	s_wait_dscnt 0x0
	v_lshrrev_b32_e32 v5, 16, v2
	s_wait_loadcnt 0x0
	v_lshrrev_b32_e32 v7, 16, v4
	s_delay_alu instid0(VALU_DEP_1) | instskip(SKIP_1) | instid1(VALU_DEP_2)
	v_mul_f16_e32 v8, v5, v7
	v_mul_f16_e32 v7, v2, v7
	v_fmac_f16_e32 v8, v2, v4
	s_delay_alu instid0(VALU_DEP_2) | instskip(NEXT) | instid1(VALU_DEP_2)
	v_fma_f16 v2, v4, v5, -v7
	v_cvt_f32_f16_e32 v4, v8
	s_delay_alu instid0(VALU_DEP_2) | instskip(NEXT) | instid1(VALU_DEP_2)
	v_cvt_f32_f16_e32 v2, v2
	v_cvt_f64_f32_e32 v[4:5], v4
	s_delay_alu instid0(VALU_DEP_2) | instskip(NEXT) | instid1(VALU_DEP_2)
	v_cvt_f64_f32_e32 v[7:8], v2
	v_mul_f64_e32 v[4:5], s[10:11], v[4:5]
	s_delay_alu instid0(VALU_DEP_2) | instskip(NEXT) | instid1(VALU_DEP_2)
	v_mul_f64_e32 v[7:8], s[10:11], v[7:8]
	v_and_or_b32 v2, 0x1ff, v5, v4
	s_delay_alu instid0(VALU_DEP_2)
	v_and_or_b32 v7, 0x1ff, v8, v7
	v_lshrrev_b32_e32 v4, 8, v5
	v_bfe_u32 v9, v5, 20, 11
	v_lshrrev_b32_e32 v10, 8, v8
	v_cmp_ne_u32_e32 vcc_lo, 0, v2
	v_bfe_u32 v11, v8, 20, 11
	v_lshrrev_b32_e32 v5, 16, v5
	v_sub_nc_u32_e32 v12, 0x3f1, v9
	v_add_nc_u32_e32 v9, 0xfffffc10, v9
	s_wait_alu 0xfffd
	v_cndmask_b32_e64 v2, 0, 1, vcc_lo
	v_cmp_ne_u32_e32 vcc_lo, 0, v7
	v_lshrrev_b32_e32 v8, 16, v8
	s_delay_alu instid0(VALU_DEP_3) | instskip(SKIP_4) | instid1(VALU_DEP_3)
	v_and_or_b32 v2, 0xffe, v4, v2
	s_wait_alu 0xfffd
	v_cndmask_b32_e64 v7, 0, 1, vcc_lo
	v_sub_nc_u32_e32 v4, 0x3f1, v11
	v_add_nc_u32_e32 v11, 0xfffffc10, v11
	v_and_or_b32 v7, 0xffe, v10, v7
	v_med3_i32 v10, v12, 0, 13
	v_or_b32_e32 v12, 0x1000, v2
	v_med3_i32 v4, v4, 0, 13
	s_delay_alu instid0(VALU_DEP_4) | instskip(NEXT) | instid1(VALU_DEP_3)
	v_or_b32_e32 v13, 0x1000, v7
	v_lshrrev_b32_e32 v14, v10, v12
	s_delay_alu instid0(VALU_DEP_2) | instskip(NEXT) | instid1(VALU_DEP_2)
	v_lshrrev_b32_e32 v15, v4, v13
	v_lshlrev_b32_e32 v10, v10, v14
	s_delay_alu instid0(VALU_DEP_2) | instskip(NEXT) | instid1(VALU_DEP_2)
	v_lshlrev_b32_e32 v4, v4, v15
	v_cmp_ne_u32_e32 vcc_lo, v10, v12
	v_lshl_or_b32 v12, v9, 12, v2
	s_wait_alu 0xfffd
	v_cndmask_b32_e64 v10, 0, 1, vcc_lo
	v_cmp_ne_u32_e32 vcc_lo, v4, v13
	v_lshl_or_b32 v13, v11, 12, v7
	s_delay_alu instid0(VALU_DEP_3) | instskip(SKIP_3) | instid1(VALU_DEP_2)
	v_or_b32_e32 v10, v14, v10
	s_wait_alu 0xfffd
	v_cndmask_b32_e64 v4, 0, 1, vcc_lo
	v_cmp_gt_i32_e32 vcc_lo, 1, v9
	v_or_b32_e32 v4, v15, v4
	s_wait_alu 0xfffd
	v_cndmask_b32_e32 v10, v12, v10, vcc_lo
	v_cmp_gt_i32_e32 vcc_lo, 1, v11
	s_wait_alu 0xfffd
	v_cndmask_b32_e32 v4, v13, v4, vcc_lo
	v_cmp_ne_u32_e32 vcc_lo, 0, v2
	s_delay_alu instid0(VALU_DEP_2)
	v_and_b32_e32 v13, 7, v4
	s_wait_alu 0xfffd
	v_cndmask_b32_e64 v2, 0, 1, vcc_lo
	v_and_b32_e32 v12, 7, v10
	v_cmp_ne_u32_e32 vcc_lo, 0, v7
	v_lshrrev_b32_e32 v10, 2, v10
	v_cmp_lt_i32_e64 s1, 5, v13
	v_cmp_eq_u32_e64 s2, 3, v13
	v_cmp_eq_u32_e64 s0, 3, v12
	s_wait_alu 0xfffd
	v_cndmask_b32_e64 v7, 0, 1, vcc_lo
	v_cmp_lt_i32_e32 vcc_lo, 5, v12
	v_lshrrev_b32_e32 v4, 2, v4
	v_lshl_or_b32 v2, v2, 9, 0x7c00
	s_delay_alu instid0(VALU_DEP_4)
	v_lshl_or_b32 v7, v7, 9, 0x7c00
	s_or_b32 vcc_lo, s0, vcc_lo
	s_wait_alu 0xfffe
	v_add_co_ci_u32_e32 v10, vcc_lo, 0, v10, vcc_lo
	s_or_b32 vcc_lo, s2, s1
	s_wait_alu 0xfffe
	v_add_co_ci_u32_e32 v4, vcc_lo, 0, v4, vcc_lo
	v_cmp_gt_i32_e32 vcc_lo, 31, v9
	s_wait_alu 0xfffd
	v_cndmask_b32_e32 v10, 0x7c00, v10, vcc_lo
	v_cmp_gt_i32_e32 vcc_lo, 31, v11
	s_wait_alu 0xfffd
	v_cndmask_b32_e32 v4, 0x7c00, v4, vcc_lo
	v_cmp_eq_u32_e32 vcc_lo, 0x40f, v9
	s_wait_alu 0xfffd
	v_cndmask_b32_e32 v2, v10, v2, vcc_lo
	v_cmp_eq_u32_e32 vcc_lo, 0x40f, v11
	s_delay_alu instid0(VALU_DEP_2)
	v_and_or_b32 v2, 0x8000, v5, v2
	s_wait_alu 0xfffd
	v_cndmask_b32_e32 v4, v4, v7, vcc_lo
	v_add_co_u32 v0, vcc_lo, v0, s4
	s_wait_alu 0xfffd
	v_add_co_ci_u32_e32 v1, vcc_lo, s5, v1, vcc_lo
	s_delay_alu instid0(VALU_DEP_3) | instskip(SKIP_1) | instid1(VALU_DEP_1)
	v_and_or_b32 v4, 0x8000, v8, v4
	v_and_b32_e32 v2, 0xffff, v2
	v_lshl_or_b32 v2, v4, 16, v2
	v_lshrrev_b32_e32 v4, 16, v3
	global_store_b32 v[0:1], v2, off
	global_load_b32 v2, v43, s[8:9] offset:2080
	s_wait_loadcnt 0x0
	v_lshrrev_b32_e32 v5, 16, v2
	s_delay_alu instid0(VALU_DEP_1) | instskip(SKIP_1) | instid1(VALU_DEP_2)
	v_mul_f16_e32 v7, v4, v5
	v_mul_f16_e32 v5, v3, v5
	v_fmac_f16_e32 v7, v3, v2
	s_delay_alu instid0(VALU_DEP_2) | instskip(NEXT) | instid1(VALU_DEP_2)
	v_fma_f16 v2, v2, v4, -v5
	v_cvt_f32_f16_e32 v3, v7
	s_delay_alu instid0(VALU_DEP_2) | instskip(NEXT) | instid1(VALU_DEP_2)
	v_cvt_f32_f16_e32 v4, v2
	v_cvt_f64_f32_e32 v[2:3], v3
	s_delay_alu instid0(VALU_DEP_2) | instskip(NEXT) | instid1(VALU_DEP_2)
	v_cvt_f64_f32_e32 v[4:5], v4
	v_mul_f64_e32 v[2:3], s[10:11], v[2:3]
	s_delay_alu instid0(VALU_DEP_2) | instskip(NEXT) | instid1(VALU_DEP_2)
	v_mul_f64_e32 v[4:5], s[10:11], v[4:5]
	v_and_or_b32 v2, 0x1ff, v3, v2
	s_delay_alu instid0(VALU_DEP_2)
	v_and_or_b32 v4, 0x1ff, v5, v4
	v_lshrrev_b32_e32 v7, 8, v3
	v_bfe_u32 v8, v3, 20, 11
	v_lshrrev_b32_e32 v9, 8, v5
	v_cmp_ne_u32_e32 vcc_lo, 0, v2
	v_bfe_u32 v10, v5, 20, 11
	v_lshrrev_b32_e32 v3, 16, v3
	v_sub_nc_u32_e32 v11, 0x3f1, v8
	v_add_nc_u32_e32 v8, 0xfffffc10, v8
	s_wait_alu 0xfffd
	v_cndmask_b32_e64 v2, 0, 1, vcc_lo
	v_cmp_ne_u32_e32 vcc_lo, 0, v4
	v_lshrrev_b32_e32 v5, 16, v5
	s_delay_alu instid0(VALU_DEP_3) | instskip(SKIP_4) | instid1(VALU_DEP_3)
	v_and_or_b32 v2, 0xffe, v7, v2
	s_wait_alu 0xfffd
	v_cndmask_b32_e64 v4, 0, 1, vcc_lo
	v_sub_nc_u32_e32 v7, 0x3f1, v10
	v_add_nc_u32_e32 v10, 0xfffffc10, v10
	v_and_or_b32 v4, 0xffe, v9, v4
	v_med3_i32 v9, v11, 0, 13
	v_or_b32_e32 v11, 0x1000, v2
	v_med3_i32 v7, v7, 0, 13
	s_delay_alu instid0(VALU_DEP_4) | instskip(NEXT) | instid1(VALU_DEP_3)
	v_or_b32_e32 v12, 0x1000, v4
	v_lshrrev_b32_e32 v13, v9, v11
	s_delay_alu instid0(VALU_DEP_2) | instskip(NEXT) | instid1(VALU_DEP_2)
	v_lshrrev_b32_e32 v14, v7, v12
	v_lshlrev_b32_e32 v9, v9, v13
	s_delay_alu instid0(VALU_DEP_2) | instskip(NEXT) | instid1(VALU_DEP_2)
	v_lshlrev_b32_e32 v7, v7, v14
	v_cmp_ne_u32_e32 vcc_lo, v9, v11
	v_lshl_or_b32 v11, v8, 12, v2
	s_wait_alu 0xfffd
	v_cndmask_b32_e64 v9, 0, 1, vcc_lo
	v_cmp_ne_u32_e32 vcc_lo, v7, v12
	v_lshl_or_b32 v12, v10, 12, v4
	s_delay_alu instid0(VALU_DEP_3) | instskip(SKIP_3) | instid1(VALU_DEP_2)
	v_or_b32_e32 v9, v13, v9
	s_wait_alu 0xfffd
	v_cndmask_b32_e64 v7, 0, 1, vcc_lo
	v_cmp_gt_i32_e32 vcc_lo, 1, v8
	v_or_b32_e32 v7, v14, v7
	s_wait_alu 0xfffd
	v_cndmask_b32_e32 v9, v11, v9, vcc_lo
	v_cmp_gt_i32_e32 vcc_lo, 1, v10
	s_delay_alu instid0(VALU_DEP_2)
	v_and_b32_e32 v11, 7, v9
	s_wait_alu 0xfffd
	v_cndmask_b32_e32 v7, v12, v7, vcc_lo
	v_cmp_ne_u32_e32 vcc_lo, 0, v2
	v_lshrrev_b32_e32 v9, 2, v9
	v_cmp_eq_u32_e64 s0, 3, v11
	s_delay_alu instid0(VALU_DEP_4)
	v_and_b32_e32 v12, 7, v7
	s_wait_alu 0xfffd
	v_cndmask_b32_e64 v2, 0, 1, vcc_lo
	v_cmp_ne_u32_e32 vcc_lo, 0, v4
	v_lshrrev_b32_e32 v7, 2, v7
	v_cmp_lt_i32_e64 s1, 5, v12
	v_cmp_eq_u32_e64 s2, 3, v12
	s_wait_alu 0xfffd
	v_cndmask_b32_e64 v4, 0, 1, vcc_lo
	v_cmp_lt_i32_e32 vcc_lo, 5, v11
	v_lshl_or_b32 v2, v2, 9, 0x7c00
	s_delay_alu instid0(VALU_DEP_3)
	v_lshl_or_b32 v4, v4, 9, 0x7c00
	s_or_b32 vcc_lo, s0, vcc_lo
	s_wait_alu 0xfffe
	v_add_co_ci_u32_e32 v9, vcc_lo, 0, v9, vcc_lo
	s_or_b32 vcc_lo, s2, s1
	s_wait_alu 0xfffe
	v_add_co_ci_u32_e32 v7, vcc_lo, 0, v7, vcc_lo
	v_cmp_gt_i32_e32 vcc_lo, 31, v8
	s_wait_alu 0xfffd
	v_cndmask_b32_e32 v9, 0x7c00, v9, vcc_lo
	v_cmp_gt_i32_e32 vcc_lo, 31, v10
	s_wait_alu 0xfffd
	v_cndmask_b32_e32 v7, 0x7c00, v7, vcc_lo
	v_cmp_eq_u32_e32 vcc_lo, 0x40f, v8
	s_wait_alu 0xfffd
	v_cndmask_b32_e32 v2, v9, v2, vcc_lo
	v_cmp_eq_u32_e32 vcc_lo, 0x40f, v10
	s_delay_alu instid0(VALU_DEP_2)
	v_and_or_b32 v2, 0x8000, v3, v2
	s_wait_alu 0xfffd
	v_cndmask_b32_e32 v4, v7, v4, vcc_lo
	v_add_co_u32 v0, vcc_lo, v0, s4
	s_wait_alu 0xfffd
	v_add_co_ci_u32_e32 v1, vcc_lo, s5, v1, vcc_lo
	s_delay_alu instid0(VALU_DEP_3) | instskip(SKIP_1) | instid1(VALU_DEP_1)
	v_and_or_b32 v3, 0x8000, v5, v4
	v_and_b32_e32 v2, 0xffff, v2
	v_lshl_or_b32 v2, v3, 16, v2
	global_store_b32 v[0:1], v2, off
	global_load_b32 v4, v43, s[8:9] offset:2340
	v_add_nc_u32_e32 v2, 0x800, v6
	ds_load_2addr_b32 v[2:3], v2 offset0:73 offset1:138
	s_wait_dscnt 0x0
	v_lshrrev_b32_e32 v5, 16, v2
	s_wait_loadcnt 0x0
	v_lshrrev_b32_e32 v7, 16, v4
	s_delay_alu instid0(VALU_DEP_1) | instskip(SKIP_1) | instid1(VALU_DEP_2)
	v_mul_f16_e32 v8, v5, v7
	v_mul_f16_e32 v7, v2, v7
	v_fmac_f16_e32 v8, v2, v4
	s_delay_alu instid0(VALU_DEP_2) | instskip(NEXT) | instid1(VALU_DEP_2)
	v_fma_f16 v2, v4, v5, -v7
	v_cvt_f32_f16_e32 v4, v8
	s_delay_alu instid0(VALU_DEP_2) | instskip(NEXT) | instid1(VALU_DEP_2)
	v_cvt_f32_f16_e32 v2, v2
	v_cvt_f64_f32_e32 v[4:5], v4
	s_delay_alu instid0(VALU_DEP_2) | instskip(NEXT) | instid1(VALU_DEP_2)
	v_cvt_f64_f32_e32 v[7:8], v2
	v_mul_f64_e32 v[4:5], s[10:11], v[4:5]
	s_delay_alu instid0(VALU_DEP_2) | instskip(NEXT) | instid1(VALU_DEP_2)
	v_mul_f64_e32 v[7:8], s[10:11], v[7:8]
	v_and_or_b32 v2, 0x1ff, v5, v4
	s_delay_alu instid0(VALU_DEP_2)
	v_and_or_b32 v7, 0x1ff, v8, v7
	v_lshrrev_b32_e32 v4, 8, v5
	v_bfe_u32 v9, v5, 20, 11
	v_lshrrev_b32_e32 v10, 8, v8
	v_cmp_ne_u32_e32 vcc_lo, 0, v2
	v_bfe_u32 v11, v8, 20, 11
	v_lshrrev_b32_e32 v5, 16, v5
	v_sub_nc_u32_e32 v12, 0x3f1, v9
	v_add_nc_u32_e32 v9, 0xfffffc10, v9
	s_wait_alu 0xfffd
	v_cndmask_b32_e64 v2, 0, 1, vcc_lo
	v_cmp_ne_u32_e32 vcc_lo, 0, v7
	v_lshrrev_b32_e32 v8, 16, v8
	s_delay_alu instid0(VALU_DEP_3) | instskip(SKIP_4) | instid1(VALU_DEP_3)
	v_and_or_b32 v2, 0xffe, v4, v2
	s_wait_alu 0xfffd
	v_cndmask_b32_e64 v7, 0, 1, vcc_lo
	v_sub_nc_u32_e32 v4, 0x3f1, v11
	v_add_nc_u32_e32 v11, 0xfffffc10, v11
	v_and_or_b32 v7, 0xffe, v10, v7
	v_med3_i32 v10, v12, 0, 13
	v_or_b32_e32 v12, 0x1000, v2
	v_med3_i32 v4, v4, 0, 13
	s_delay_alu instid0(VALU_DEP_4) | instskip(NEXT) | instid1(VALU_DEP_3)
	v_or_b32_e32 v13, 0x1000, v7
	v_lshrrev_b32_e32 v14, v10, v12
	s_delay_alu instid0(VALU_DEP_2) | instskip(NEXT) | instid1(VALU_DEP_2)
	v_lshrrev_b32_e32 v15, v4, v13
	v_lshlrev_b32_e32 v10, v10, v14
	s_delay_alu instid0(VALU_DEP_2) | instskip(NEXT) | instid1(VALU_DEP_2)
	v_lshlrev_b32_e32 v4, v4, v15
	v_cmp_ne_u32_e32 vcc_lo, v10, v12
	v_lshl_or_b32 v12, v9, 12, v2
	s_wait_alu 0xfffd
	v_cndmask_b32_e64 v10, 0, 1, vcc_lo
	v_cmp_ne_u32_e32 vcc_lo, v4, v13
	v_lshl_or_b32 v13, v11, 12, v7
	s_delay_alu instid0(VALU_DEP_3) | instskip(SKIP_3) | instid1(VALU_DEP_2)
	v_or_b32_e32 v10, v14, v10
	s_wait_alu 0xfffd
	v_cndmask_b32_e64 v4, 0, 1, vcc_lo
	v_cmp_gt_i32_e32 vcc_lo, 1, v9
	v_or_b32_e32 v4, v15, v4
	s_wait_alu 0xfffd
	v_cndmask_b32_e32 v10, v12, v10, vcc_lo
	v_cmp_gt_i32_e32 vcc_lo, 1, v11
	s_delay_alu instid0(VALU_DEP_2)
	v_and_b32_e32 v12, 7, v10
	s_wait_alu 0xfffd
	v_cndmask_b32_e32 v4, v13, v4, vcc_lo
	v_cmp_ne_u32_e32 vcc_lo, 0, v2
	v_lshrrev_b32_e32 v10, 2, v10
	v_cmp_eq_u32_e64 s0, 3, v12
	s_delay_alu instid0(VALU_DEP_4)
	v_and_b32_e32 v13, 7, v4
	s_wait_alu 0xfffd
	v_cndmask_b32_e64 v2, 0, 1, vcc_lo
	v_cmp_ne_u32_e32 vcc_lo, 0, v7
	v_lshrrev_b32_e32 v4, 2, v4
	v_cmp_lt_i32_e64 s1, 5, v13
	v_cmp_eq_u32_e64 s2, 3, v13
	s_wait_alu 0xfffd
	v_cndmask_b32_e64 v7, 0, 1, vcc_lo
	v_cmp_lt_i32_e32 vcc_lo, 5, v12
	v_lshl_or_b32 v2, v2, 9, 0x7c00
	s_delay_alu instid0(VALU_DEP_3)
	v_lshl_or_b32 v7, v7, 9, 0x7c00
	s_or_b32 vcc_lo, s0, vcc_lo
	s_wait_alu 0xfffe
	v_add_co_ci_u32_e32 v10, vcc_lo, 0, v10, vcc_lo
	s_or_b32 vcc_lo, s2, s1
	s_wait_alu 0xfffe
	v_add_co_ci_u32_e32 v4, vcc_lo, 0, v4, vcc_lo
	v_cmp_gt_i32_e32 vcc_lo, 31, v9
	s_wait_alu 0xfffd
	v_cndmask_b32_e32 v10, 0x7c00, v10, vcc_lo
	v_cmp_gt_i32_e32 vcc_lo, 31, v11
	s_wait_alu 0xfffd
	v_cndmask_b32_e32 v4, 0x7c00, v4, vcc_lo
	v_cmp_eq_u32_e32 vcc_lo, 0x40f, v9
	s_wait_alu 0xfffd
	v_cndmask_b32_e32 v2, v10, v2, vcc_lo
	v_cmp_eq_u32_e32 vcc_lo, 0x40f, v11
	s_delay_alu instid0(VALU_DEP_2)
	v_and_or_b32 v2, 0x8000, v5, v2
	s_wait_alu 0xfffd
	v_cndmask_b32_e32 v4, v4, v7, vcc_lo
	v_add_co_u32 v0, vcc_lo, v0, s4
	s_wait_alu 0xfffd
	v_add_co_ci_u32_e32 v1, vcc_lo, s5, v1, vcc_lo
	s_delay_alu instid0(VALU_DEP_3) | instskip(SKIP_1) | instid1(VALU_DEP_1)
	v_and_or_b32 v4, 0x8000, v8, v4
	v_and_b32_e32 v2, 0xffff, v2
	v_lshl_or_b32 v2, v4, 16, v2
	v_lshrrev_b32_e32 v4, 16, v3
	global_store_b32 v[0:1], v2, off
	global_load_b32 v2, v43, s[8:9] offset:2600
	s_wait_loadcnt 0x0
	v_lshrrev_b32_e32 v5, 16, v2
	s_delay_alu instid0(VALU_DEP_1) | instskip(SKIP_1) | instid1(VALU_DEP_2)
	v_mul_f16_e32 v7, v4, v5
	v_mul_f16_e32 v5, v3, v5
	v_fmac_f16_e32 v7, v3, v2
	s_delay_alu instid0(VALU_DEP_2) | instskip(NEXT) | instid1(VALU_DEP_2)
	v_fma_f16 v2, v2, v4, -v5
	v_cvt_f32_f16_e32 v3, v7
	s_delay_alu instid0(VALU_DEP_2) | instskip(NEXT) | instid1(VALU_DEP_2)
	v_cvt_f32_f16_e32 v4, v2
	v_cvt_f64_f32_e32 v[2:3], v3
	s_delay_alu instid0(VALU_DEP_2) | instskip(NEXT) | instid1(VALU_DEP_2)
	v_cvt_f64_f32_e32 v[4:5], v4
	v_mul_f64_e32 v[2:3], s[10:11], v[2:3]
	s_delay_alu instid0(VALU_DEP_2) | instskip(NEXT) | instid1(VALU_DEP_2)
	v_mul_f64_e32 v[4:5], s[10:11], v[4:5]
	v_and_or_b32 v2, 0x1ff, v3, v2
	s_delay_alu instid0(VALU_DEP_2)
	v_and_or_b32 v4, 0x1ff, v5, v4
	v_lshrrev_b32_e32 v7, 8, v3
	v_bfe_u32 v8, v3, 20, 11
	v_lshrrev_b32_e32 v9, 8, v5
	v_cmp_ne_u32_e32 vcc_lo, 0, v2
	v_bfe_u32 v10, v5, 20, 11
	v_lshrrev_b32_e32 v3, 16, v3
	v_sub_nc_u32_e32 v11, 0x3f1, v8
	v_add_nc_u32_e32 v8, 0xfffffc10, v8
	s_wait_alu 0xfffd
	v_cndmask_b32_e64 v2, 0, 1, vcc_lo
	v_cmp_ne_u32_e32 vcc_lo, 0, v4
	v_lshrrev_b32_e32 v5, 16, v5
	s_delay_alu instid0(VALU_DEP_3) | instskip(SKIP_4) | instid1(VALU_DEP_3)
	v_and_or_b32 v2, 0xffe, v7, v2
	s_wait_alu 0xfffd
	v_cndmask_b32_e64 v4, 0, 1, vcc_lo
	v_sub_nc_u32_e32 v7, 0x3f1, v10
	v_add_nc_u32_e32 v10, 0xfffffc10, v10
	v_and_or_b32 v4, 0xffe, v9, v4
	v_med3_i32 v9, v11, 0, 13
	v_or_b32_e32 v11, 0x1000, v2
	v_med3_i32 v7, v7, 0, 13
	s_delay_alu instid0(VALU_DEP_4) | instskip(NEXT) | instid1(VALU_DEP_3)
	v_or_b32_e32 v12, 0x1000, v4
	v_lshrrev_b32_e32 v13, v9, v11
	s_delay_alu instid0(VALU_DEP_2) | instskip(NEXT) | instid1(VALU_DEP_2)
	v_lshrrev_b32_e32 v14, v7, v12
	v_lshlrev_b32_e32 v9, v9, v13
	s_delay_alu instid0(VALU_DEP_2) | instskip(NEXT) | instid1(VALU_DEP_2)
	v_lshlrev_b32_e32 v7, v7, v14
	v_cmp_ne_u32_e32 vcc_lo, v9, v11
	v_lshl_or_b32 v11, v8, 12, v2
	s_wait_alu 0xfffd
	v_cndmask_b32_e64 v9, 0, 1, vcc_lo
	v_cmp_ne_u32_e32 vcc_lo, v7, v12
	v_lshl_or_b32 v12, v10, 12, v4
	s_delay_alu instid0(VALU_DEP_3) | instskip(SKIP_3) | instid1(VALU_DEP_2)
	v_or_b32_e32 v9, v13, v9
	s_wait_alu 0xfffd
	v_cndmask_b32_e64 v7, 0, 1, vcc_lo
	v_cmp_gt_i32_e32 vcc_lo, 1, v8
	v_or_b32_e32 v7, v14, v7
	s_wait_alu 0xfffd
	v_cndmask_b32_e32 v9, v11, v9, vcc_lo
	v_cmp_gt_i32_e32 vcc_lo, 1, v10
	s_delay_alu instid0(VALU_DEP_2)
	v_and_b32_e32 v11, 7, v9
	s_wait_alu 0xfffd
	v_cndmask_b32_e32 v7, v12, v7, vcc_lo
	v_cmp_ne_u32_e32 vcc_lo, 0, v2
	v_lshrrev_b32_e32 v9, 2, v9
	v_cmp_eq_u32_e64 s0, 3, v11
	s_delay_alu instid0(VALU_DEP_4)
	v_and_b32_e32 v12, 7, v7
	s_wait_alu 0xfffd
	v_cndmask_b32_e64 v2, 0, 1, vcc_lo
	v_cmp_ne_u32_e32 vcc_lo, 0, v4
	v_lshrrev_b32_e32 v7, 2, v7
	v_cmp_lt_i32_e64 s1, 5, v12
	v_cmp_eq_u32_e64 s2, 3, v12
	s_wait_alu 0xfffd
	v_cndmask_b32_e64 v4, 0, 1, vcc_lo
	v_cmp_lt_i32_e32 vcc_lo, 5, v11
	v_lshl_or_b32 v2, v2, 9, 0x7c00
	s_delay_alu instid0(VALU_DEP_3)
	v_lshl_or_b32 v4, v4, 9, 0x7c00
	s_or_b32 vcc_lo, s0, vcc_lo
	s_wait_alu 0xfffe
	v_add_co_ci_u32_e32 v9, vcc_lo, 0, v9, vcc_lo
	s_or_b32 vcc_lo, s2, s1
	s_wait_alu 0xfffe
	v_add_co_ci_u32_e32 v7, vcc_lo, 0, v7, vcc_lo
	v_cmp_gt_i32_e32 vcc_lo, 31, v8
	s_wait_alu 0xfffd
	v_cndmask_b32_e32 v9, 0x7c00, v9, vcc_lo
	v_cmp_gt_i32_e32 vcc_lo, 31, v10
	s_wait_alu 0xfffd
	v_cndmask_b32_e32 v7, 0x7c00, v7, vcc_lo
	v_cmp_eq_u32_e32 vcc_lo, 0x40f, v8
	s_wait_alu 0xfffd
	v_cndmask_b32_e32 v2, v9, v2, vcc_lo
	v_cmp_eq_u32_e32 vcc_lo, 0x40f, v10
	s_delay_alu instid0(VALU_DEP_2)
	v_and_or_b32 v2, 0x8000, v3, v2
	s_wait_alu 0xfffd
	v_cndmask_b32_e32 v4, v7, v4, vcc_lo
	v_add_co_u32 v0, vcc_lo, v0, s4
	s_wait_alu 0xfffd
	v_add_co_ci_u32_e32 v1, vcc_lo, s5, v1, vcc_lo
	s_delay_alu instid0(VALU_DEP_3) | instskip(SKIP_1) | instid1(VALU_DEP_1)
	v_and_or_b32 v3, 0x8000, v5, v4
	v_and_b32_e32 v2, 0xffff, v2
	v_lshl_or_b32 v2, v3, 16, v2
	global_store_b32 v[0:1], v2, off
	global_load_b32 v4, v43, s[8:9] offset:2860
	v_add_nc_u32_e32 v2, 0xa00, v6
	ds_load_2addr_b32 v[2:3], v2 offset0:75 offset1:140
	s_wait_dscnt 0x0
	v_lshrrev_b32_e32 v5, 16, v2
	s_wait_loadcnt 0x0
	v_lshrrev_b32_e32 v7, 16, v4
	s_delay_alu instid0(VALU_DEP_1) | instskip(SKIP_1) | instid1(VALU_DEP_2)
	v_mul_f16_e32 v8, v5, v7
	v_mul_f16_e32 v7, v2, v7
	v_fmac_f16_e32 v8, v2, v4
	s_delay_alu instid0(VALU_DEP_2) | instskip(NEXT) | instid1(VALU_DEP_2)
	v_fma_f16 v2, v4, v5, -v7
	v_cvt_f32_f16_e32 v4, v8
	s_delay_alu instid0(VALU_DEP_2) | instskip(NEXT) | instid1(VALU_DEP_2)
	v_cvt_f32_f16_e32 v2, v2
	v_cvt_f64_f32_e32 v[4:5], v4
	s_delay_alu instid0(VALU_DEP_2) | instskip(NEXT) | instid1(VALU_DEP_2)
	v_cvt_f64_f32_e32 v[7:8], v2
	v_mul_f64_e32 v[4:5], s[10:11], v[4:5]
	s_delay_alu instid0(VALU_DEP_2) | instskip(NEXT) | instid1(VALU_DEP_2)
	v_mul_f64_e32 v[7:8], s[10:11], v[7:8]
	v_and_or_b32 v2, 0x1ff, v5, v4
	s_delay_alu instid0(VALU_DEP_2)
	v_and_or_b32 v7, 0x1ff, v8, v7
	v_lshrrev_b32_e32 v4, 8, v5
	v_bfe_u32 v9, v5, 20, 11
	v_lshrrev_b32_e32 v10, 8, v8
	v_cmp_ne_u32_e32 vcc_lo, 0, v2
	v_bfe_u32 v11, v8, 20, 11
	v_lshrrev_b32_e32 v5, 16, v5
	v_sub_nc_u32_e32 v12, 0x3f1, v9
	v_add_nc_u32_e32 v9, 0xfffffc10, v9
	s_wait_alu 0xfffd
	v_cndmask_b32_e64 v2, 0, 1, vcc_lo
	v_cmp_ne_u32_e32 vcc_lo, 0, v7
	v_lshrrev_b32_e32 v8, 16, v8
	s_delay_alu instid0(VALU_DEP_3) | instskip(SKIP_4) | instid1(VALU_DEP_3)
	v_and_or_b32 v2, 0xffe, v4, v2
	s_wait_alu 0xfffd
	v_cndmask_b32_e64 v7, 0, 1, vcc_lo
	v_sub_nc_u32_e32 v4, 0x3f1, v11
	v_add_nc_u32_e32 v11, 0xfffffc10, v11
	v_and_or_b32 v7, 0xffe, v10, v7
	v_med3_i32 v10, v12, 0, 13
	v_or_b32_e32 v12, 0x1000, v2
	v_med3_i32 v4, v4, 0, 13
	s_delay_alu instid0(VALU_DEP_4) | instskip(NEXT) | instid1(VALU_DEP_3)
	v_or_b32_e32 v13, 0x1000, v7
	v_lshrrev_b32_e32 v14, v10, v12
	s_delay_alu instid0(VALU_DEP_2) | instskip(NEXT) | instid1(VALU_DEP_2)
	v_lshrrev_b32_e32 v15, v4, v13
	v_lshlrev_b32_e32 v10, v10, v14
	s_delay_alu instid0(VALU_DEP_2) | instskip(NEXT) | instid1(VALU_DEP_2)
	v_lshlrev_b32_e32 v4, v4, v15
	v_cmp_ne_u32_e32 vcc_lo, v10, v12
	v_lshl_or_b32 v12, v9, 12, v2
	s_wait_alu 0xfffd
	v_cndmask_b32_e64 v10, 0, 1, vcc_lo
	v_cmp_ne_u32_e32 vcc_lo, v4, v13
	v_lshl_or_b32 v13, v11, 12, v7
	s_delay_alu instid0(VALU_DEP_3) | instskip(SKIP_3) | instid1(VALU_DEP_2)
	v_or_b32_e32 v10, v14, v10
	s_wait_alu 0xfffd
	v_cndmask_b32_e64 v4, 0, 1, vcc_lo
	v_cmp_gt_i32_e32 vcc_lo, 1, v9
	v_or_b32_e32 v4, v15, v4
	s_wait_alu 0xfffd
	v_cndmask_b32_e32 v10, v12, v10, vcc_lo
	v_cmp_gt_i32_e32 vcc_lo, 1, v11
	s_delay_alu instid0(VALU_DEP_2)
	v_and_b32_e32 v12, 7, v10
	s_wait_alu 0xfffd
	v_cndmask_b32_e32 v4, v13, v4, vcc_lo
	v_cmp_ne_u32_e32 vcc_lo, 0, v2
	v_lshrrev_b32_e32 v10, 2, v10
	v_cmp_eq_u32_e64 s0, 3, v12
	s_delay_alu instid0(VALU_DEP_4)
	v_and_b32_e32 v13, 7, v4
	s_wait_alu 0xfffd
	v_cndmask_b32_e64 v2, 0, 1, vcc_lo
	v_cmp_ne_u32_e32 vcc_lo, 0, v7
	v_lshrrev_b32_e32 v4, 2, v4
	v_cmp_lt_i32_e64 s1, 5, v13
	v_cmp_eq_u32_e64 s2, 3, v13
	s_wait_alu 0xfffd
	v_cndmask_b32_e64 v7, 0, 1, vcc_lo
	v_cmp_lt_i32_e32 vcc_lo, 5, v12
	v_lshl_or_b32 v2, v2, 9, 0x7c00
	s_delay_alu instid0(VALU_DEP_3)
	v_lshl_or_b32 v7, v7, 9, 0x7c00
	s_or_b32 vcc_lo, s0, vcc_lo
	s_wait_alu 0xfffe
	v_add_co_ci_u32_e32 v10, vcc_lo, 0, v10, vcc_lo
	s_or_b32 vcc_lo, s2, s1
	s_wait_alu 0xfffe
	v_add_co_ci_u32_e32 v4, vcc_lo, 0, v4, vcc_lo
	v_cmp_gt_i32_e32 vcc_lo, 31, v9
	s_wait_alu 0xfffd
	v_cndmask_b32_e32 v10, 0x7c00, v10, vcc_lo
	v_cmp_gt_i32_e32 vcc_lo, 31, v11
	s_wait_alu 0xfffd
	v_cndmask_b32_e32 v4, 0x7c00, v4, vcc_lo
	v_cmp_eq_u32_e32 vcc_lo, 0x40f, v9
	s_wait_alu 0xfffd
	v_cndmask_b32_e32 v2, v10, v2, vcc_lo
	v_cmp_eq_u32_e32 vcc_lo, 0x40f, v11
	s_delay_alu instid0(VALU_DEP_2)
	v_and_or_b32 v2, 0x8000, v5, v2
	s_wait_alu 0xfffd
	v_cndmask_b32_e32 v4, v4, v7, vcc_lo
	v_add_co_u32 v0, vcc_lo, v0, s4
	s_wait_alu 0xfffd
	v_add_co_ci_u32_e32 v1, vcc_lo, s5, v1, vcc_lo
	s_delay_alu instid0(VALU_DEP_3) | instskip(SKIP_1) | instid1(VALU_DEP_1)
	v_and_or_b32 v4, 0x8000, v8, v4
	v_and_b32_e32 v2, 0xffff, v2
	v_lshl_or_b32 v2, v4, 16, v2
	v_lshrrev_b32_e32 v4, 16, v3
	global_store_b32 v[0:1], v2, off
	global_load_b32 v2, v43, s[8:9] offset:3120
	s_wait_loadcnt 0x0
	v_lshrrev_b32_e32 v5, 16, v2
	s_delay_alu instid0(VALU_DEP_1) | instskip(SKIP_1) | instid1(VALU_DEP_2)
	v_mul_f16_e32 v7, v4, v5
	v_mul_f16_e32 v5, v3, v5
	v_fmac_f16_e32 v7, v3, v2
	s_delay_alu instid0(VALU_DEP_2) | instskip(NEXT) | instid1(VALU_DEP_2)
	v_fma_f16 v2, v2, v4, -v5
	v_cvt_f32_f16_e32 v3, v7
	s_delay_alu instid0(VALU_DEP_2) | instskip(NEXT) | instid1(VALU_DEP_2)
	v_cvt_f32_f16_e32 v4, v2
	v_cvt_f64_f32_e32 v[2:3], v3
	s_delay_alu instid0(VALU_DEP_2) | instskip(NEXT) | instid1(VALU_DEP_2)
	v_cvt_f64_f32_e32 v[4:5], v4
	v_mul_f64_e32 v[2:3], s[10:11], v[2:3]
	s_delay_alu instid0(VALU_DEP_2) | instskip(NEXT) | instid1(VALU_DEP_2)
	v_mul_f64_e32 v[4:5], s[10:11], v[4:5]
	v_and_or_b32 v2, 0x1ff, v3, v2
	s_delay_alu instid0(VALU_DEP_2)
	v_and_or_b32 v4, 0x1ff, v5, v4
	v_lshrrev_b32_e32 v7, 8, v3
	v_bfe_u32 v8, v3, 20, 11
	v_lshrrev_b32_e32 v9, 8, v5
	v_cmp_ne_u32_e32 vcc_lo, 0, v2
	v_bfe_u32 v10, v5, 20, 11
	v_lshrrev_b32_e32 v3, 16, v3
	v_sub_nc_u32_e32 v11, 0x3f1, v8
	v_add_nc_u32_e32 v8, 0xfffffc10, v8
	s_wait_alu 0xfffd
	v_cndmask_b32_e64 v2, 0, 1, vcc_lo
	v_cmp_ne_u32_e32 vcc_lo, 0, v4
	v_lshrrev_b32_e32 v5, 16, v5
	s_delay_alu instid0(VALU_DEP_3) | instskip(SKIP_4) | instid1(VALU_DEP_3)
	v_and_or_b32 v2, 0xffe, v7, v2
	s_wait_alu 0xfffd
	v_cndmask_b32_e64 v4, 0, 1, vcc_lo
	v_sub_nc_u32_e32 v7, 0x3f1, v10
	v_add_nc_u32_e32 v10, 0xfffffc10, v10
	v_and_or_b32 v4, 0xffe, v9, v4
	v_med3_i32 v9, v11, 0, 13
	v_or_b32_e32 v11, 0x1000, v2
	v_med3_i32 v7, v7, 0, 13
	s_delay_alu instid0(VALU_DEP_4) | instskip(NEXT) | instid1(VALU_DEP_3)
	v_or_b32_e32 v12, 0x1000, v4
	v_lshrrev_b32_e32 v13, v9, v11
	s_delay_alu instid0(VALU_DEP_2) | instskip(NEXT) | instid1(VALU_DEP_2)
	v_lshrrev_b32_e32 v14, v7, v12
	v_lshlrev_b32_e32 v9, v9, v13
	s_delay_alu instid0(VALU_DEP_2) | instskip(NEXT) | instid1(VALU_DEP_2)
	v_lshlrev_b32_e32 v7, v7, v14
	v_cmp_ne_u32_e32 vcc_lo, v9, v11
	v_lshl_or_b32 v11, v8, 12, v2
	s_wait_alu 0xfffd
	v_cndmask_b32_e64 v9, 0, 1, vcc_lo
	v_cmp_ne_u32_e32 vcc_lo, v7, v12
	v_lshl_or_b32 v12, v10, 12, v4
	s_delay_alu instid0(VALU_DEP_3) | instskip(SKIP_3) | instid1(VALU_DEP_2)
	v_or_b32_e32 v9, v13, v9
	s_wait_alu 0xfffd
	v_cndmask_b32_e64 v7, 0, 1, vcc_lo
	v_cmp_gt_i32_e32 vcc_lo, 1, v8
	v_or_b32_e32 v7, v14, v7
	s_wait_alu 0xfffd
	v_cndmask_b32_e32 v9, v11, v9, vcc_lo
	v_cmp_gt_i32_e32 vcc_lo, 1, v10
	s_delay_alu instid0(VALU_DEP_2)
	v_and_b32_e32 v11, 7, v9
	s_wait_alu 0xfffd
	v_cndmask_b32_e32 v7, v12, v7, vcc_lo
	v_cmp_ne_u32_e32 vcc_lo, 0, v2
	v_lshrrev_b32_e32 v9, 2, v9
	v_cmp_eq_u32_e64 s0, 3, v11
	s_delay_alu instid0(VALU_DEP_4)
	v_and_b32_e32 v12, 7, v7
	s_wait_alu 0xfffd
	v_cndmask_b32_e64 v2, 0, 1, vcc_lo
	v_cmp_ne_u32_e32 vcc_lo, 0, v4
	v_lshrrev_b32_e32 v7, 2, v7
	v_cmp_lt_i32_e64 s1, 5, v12
	v_cmp_eq_u32_e64 s2, 3, v12
	s_wait_alu 0xfffd
	v_cndmask_b32_e64 v4, 0, 1, vcc_lo
	v_cmp_lt_i32_e32 vcc_lo, 5, v11
	v_lshl_or_b32 v2, v2, 9, 0x7c00
	s_delay_alu instid0(VALU_DEP_3)
	v_lshl_or_b32 v4, v4, 9, 0x7c00
	s_or_b32 vcc_lo, s0, vcc_lo
	s_wait_alu 0xfffe
	v_add_co_ci_u32_e32 v9, vcc_lo, 0, v9, vcc_lo
	s_or_b32 vcc_lo, s2, s1
	s_wait_alu 0xfffe
	v_add_co_ci_u32_e32 v7, vcc_lo, 0, v7, vcc_lo
	v_cmp_gt_i32_e32 vcc_lo, 31, v8
	s_wait_alu 0xfffd
	v_cndmask_b32_e32 v9, 0x7c00, v9, vcc_lo
	v_cmp_gt_i32_e32 vcc_lo, 31, v10
	s_wait_alu 0xfffd
	v_cndmask_b32_e32 v7, 0x7c00, v7, vcc_lo
	v_cmp_eq_u32_e32 vcc_lo, 0x40f, v8
	s_wait_alu 0xfffd
	v_cndmask_b32_e32 v2, v9, v2, vcc_lo
	v_cmp_eq_u32_e32 vcc_lo, 0x40f, v10
	s_delay_alu instid0(VALU_DEP_2)
	v_and_or_b32 v2, 0x8000, v3, v2
	s_wait_alu 0xfffd
	v_cndmask_b32_e32 v4, v7, v4, vcc_lo
	v_add_co_u32 v0, vcc_lo, v0, s4
	s_wait_alu 0xfffd
	v_add_co_ci_u32_e32 v1, vcc_lo, s5, v1, vcc_lo
	s_delay_alu instid0(VALU_DEP_3) | instskip(SKIP_1) | instid1(VALU_DEP_1)
	v_and_or_b32 v3, 0x8000, v5, v4
	v_and_b32_e32 v2, 0xffff, v2
	v_lshl_or_b32 v2, v3, 16, v2
	global_store_b32 v[0:1], v2, off
	global_load_b32 v4, v43, s[8:9] offset:3380
	v_add_nc_u32_e32 v2, 0xc00, v6
	ds_load_2addr_b32 v[2:3], v2 offset0:77 offset1:142
	s_wait_dscnt 0x0
	v_lshrrev_b32_e32 v5, 16, v2
	s_wait_loadcnt 0x0
	v_lshrrev_b32_e32 v7, 16, v4
	s_delay_alu instid0(VALU_DEP_1) | instskip(SKIP_1) | instid1(VALU_DEP_2)
	v_mul_f16_e32 v8, v5, v7
	v_mul_f16_e32 v7, v2, v7
	v_fmac_f16_e32 v8, v2, v4
	s_delay_alu instid0(VALU_DEP_2) | instskip(NEXT) | instid1(VALU_DEP_2)
	v_fma_f16 v2, v4, v5, -v7
	v_cvt_f32_f16_e32 v4, v8
	s_delay_alu instid0(VALU_DEP_2) | instskip(NEXT) | instid1(VALU_DEP_2)
	v_cvt_f32_f16_e32 v2, v2
	v_cvt_f64_f32_e32 v[4:5], v4
	s_delay_alu instid0(VALU_DEP_2) | instskip(NEXT) | instid1(VALU_DEP_2)
	v_cvt_f64_f32_e32 v[7:8], v2
	v_mul_f64_e32 v[4:5], s[10:11], v[4:5]
	s_delay_alu instid0(VALU_DEP_2) | instskip(NEXT) | instid1(VALU_DEP_2)
	v_mul_f64_e32 v[7:8], s[10:11], v[7:8]
	v_and_or_b32 v2, 0x1ff, v5, v4
	s_delay_alu instid0(VALU_DEP_2)
	v_and_or_b32 v7, 0x1ff, v8, v7
	v_lshrrev_b32_e32 v4, 8, v5
	v_bfe_u32 v9, v5, 20, 11
	v_lshrrev_b32_e32 v10, 8, v8
	v_cmp_ne_u32_e32 vcc_lo, 0, v2
	v_bfe_u32 v11, v8, 20, 11
	v_lshrrev_b32_e32 v5, 16, v5
	v_sub_nc_u32_e32 v12, 0x3f1, v9
	v_add_nc_u32_e32 v9, 0xfffffc10, v9
	s_wait_alu 0xfffd
	v_cndmask_b32_e64 v2, 0, 1, vcc_lo
	v_cmp_ne_u32_e32 vcc_lo, 0, v7
	v_lshrrev_b32_e32 v8, 16, v8
	s_delay_alu instid0(VALU_DEP_3) | instskip(SKIP_4) | instid1(VALU_DEP_3)
	v_and_or_b32 v2, 0xffe, v4, v2
	s_wait_alu 0xfffd
	v_cndmask_b32_e64 v7, 0, 1, vcc_lo
	v_sub_nc_u32_e32 v4, 0x3f1, v11
	v_add_nc_u32_e32 v11, 0xfffffc10, v11
	v_and_or_b32 v7, 0xffe, v10, v7
	v_med3_i32 v10, v12, 0, 13
	v_or_b32_e32 v12, 0x1000, v2
	v_med3_i32 v4, v4, 0, 13
	s_delay_alu instid0(VALU_DEP_4) | instskip(NEXT) | instid1(VALU_DEP_3)
	v_or_b32_e32 v13, 0x1000, v7
	v_lshrrev_b32_e32 v14, v10, v12
	s_delay_alu instid0(VALU_DEP_2) | instskip(NEXT) | instid1(VALU_DEP_2)
	v_lshrrev_b32_e32 v15, v4, v13
	v_lshlrev_b32_e32 v10, v10, v14
	s_delay_alu instid0(VALU_DEP_2) | instskip(NEXT) | instid1(VALU_DEP_2)
	v_lshlrev_b32_e32 v4, v4, v15
	v_cmp_ne_u32_e32 vcc_lo, v10, v12
	v_lshl_or_b32 v12, v9, 12, v2
	s_wait_alu 0xfffd
	v_cndmask_b32_e64 v10, 0, 1, vcc_lo
	v_cmp_ne_u32_e32 vcc_lo, v4, v13
	v_lshl_or_b32 v13, v11, 12, v7
	s_delay_alu instid0(VALU_DEP_3) | instskip(SKIP_3) | instid1(VALU_DEP_2)
	v_or_b32_e32 v10, v14, v10
	s_wait_alu 0xfffd
	v_cndmask_b32_e64 v4, 0, 1, vcc_lo
	v_cmp_gt_i32_e32 vcc_lo, 1, v9
	v_or_b32_e32 v4, v15, v4
	s_wait_alu 0xfffd
	v_cndmask_b32_e32 v10, v12, v10, vcc_lo
	v_cmp_gt_i32_e32 vcc_lo, 1, v11
	s_delay_alu instid0(VALU_DEP_2)
	v_and_b32_e32 v12, 7, v10
	s_wait_alu 0xfffd
	v_cndmask_b32_e32 v4, v13, v4, vcc_lo
	v_cmp_ne_u32_e32 vcc_lo, 0, v2
	v_lshrrev_b32_e32 v10, 2, v10
	v_cmp_eq_u32_e64 s0, 3, v12
	s_delay_alu instid0(VALU_DEP_4)
	v_and_b32_e32 v13, 7, v4
	s_wait_alu 0xfffd
	v_cndmask_b32_e64 v2, 0, 1, vcc_lo
	v_cmp_ne_u32_e32 vcc_lo, 0, v7
	v_lshrrev_b32_e32 v4, 2, v4
	v_cmp_lt_i32_e64 s1, 5, v13
	v_cmp_eq_u32_e64 s2, 3, v13
	s_wait_alu 0xfffd
	v_cndmask_b32_e64 v7, 0, 1, vcc_lo
	v_cmp_lt_i32_e32 vcc_lo, 5, v12
	v_lshl_or_b32 v2, v2, 9, 0x7c00
	s_delay_alu instid0(VALU_DEP_3)
	v_lshl_or_b32 v7, v7, 9, 0x7c00
	s_or_b32 vcc_lo, s0, vcc_lo
	s_wait_alu 0xfffe
	v_add_co_ci_u32_e32 v10, vcc_lo, 0, v10, vcc_lo
	s_or_b32 vcc_lo, s2, s1
	s_wait_alu 0xfffe
	v_add_co_ci_u32_e32 v4, vcc_lo, 0, v4, vcc_lo
	v_cmp_gt_i32_e32 vcc_lo, 31, v9
	s_wait_alu 0xfffd
	v_cndmask_b32_e32 v10, 0x7c00, v10, vcc_lo
	v_cmp_gt_i32_e32 vcc_lo, 31, v11
	s_wait_alu 0xfffd
	v_cndmask_b32_e32 v4, 0x7c00, v4, vcc_lo
	v_cmp_eq_u32_e32 vcc_lo, 0x40f, v9
	s_wait_alu 0xfffd
	v_cndmask_b32_e32 v2, v10, v2, vcc_lo
	v_cmp_eq_u32_e32 vcc_lo, 0x40f, v11
	s_delay_alu instid0(VALU_DEP_2)
	v_and_or_b32 v2, 0x8000, v5, v2
	s_wait_alu 0xfffd
	v_cndmask_b32_e32 v4, v4, v7, vcc_lo
	v_add_co_u32 v0, vcc_lo, v0, s4
	s_wait_alu 0xfffd
	v_add_co_ci_u32_e32 v1, vcc_lo, s5, v1, vcc_lo
	s_delay_alu instid0(VALU_DEP_3) | instskip(SKIP_1) | instid1(VALU_DEP_1)
	v_and_or_b32 v4, 0x8000, v8, v4
	v_and_b32_e32 v2, 0xffff, v2
	v_lshl_or_b32 v2, v4, 16, v2
	v_lshrrev_b32_e32 v4, 16, v3
	global_store_b32 v[0:1], v2, off
	global_load_b32 v2, v43, s[8:9] offset:3640
	s_wait_loadcnt 0x0
	v_lshrrev_b32_e32 v5, 16, v2
	s_delay_alu instid0(VALU_DEP_1) | instskip(SKIP_1) | instid1(VALU_DEP_2)
	v_mul_f16_e32 v7, v4, v5
	v_mul_f16_e32 v5, v3, v5
	v_fmac_f16_e32 v7, v3, v2
	s_delay_alu instid0(VALU_DEP_2) | instskip(NEXT) | instid1(VALU_DEP_2)
	v_fma_f16 v2, v2, v4, -v5
	v_cvt_f32_f16_e32 v3, v7
	s_delay_alu instid0(VALU_DEP_2) | instskip(NEXT) | instid1(VALU_DEP_2)
	v_cvt_f32_f16_e32 v4, v2
	v_cvt_f64_f32_e32 v[2:3], v3
	s_delay_alu instid0(VALU_DEP_2) | instskip(NEXT) | instid1(VALU_DEP_2)
	v_cvt_f64_f32_e32 v[4:5], v4
	v_mul_f64_e32 v[2:3], s[10:11], v[2:3]
	s_delay_alu instid0(VALU_DEP_2) | instskip(NEXT) | instid1(VALU_DEP_2)
	v_mul_f64_e32 v[4:5], s[10:11], v[4:5]
	v_and_or_b32 v2, 0x1ff, v3, v2
	s_delay_alu instid0(VALU_DEP_2)
	v_and_or_b32 v4, 0x1ff, v5, v4
	v_lshrrev_b32_e32 v7, 8, v3
	v_bfe_u32 v8, v3, 20, 11
	v_lshrrev_b32_e32 v9, 8, v5
	v_cmp_ne_u32_e32 vcc_lo, 0, v2
	v_bfe_u32 v10, v5, 20, 11
	v_lshrrev_b32_e32 v3, 16, v3
	v_sub_nc_u32_e32 v11, 0x3f1, v8
	v_add_nc_u32_e32 v8, 0xfffffc10, v8
	s_wait_alu 0xfffd
	v_cndmask_b32_e64 v2, 0, 1, vcc_lo
	v_cmp_ne_u32_e32 vcc_lo, 0, v4
	v_lshrrev_b32_e32 v5, 16, v5
	s_delay_alu instid0(VALU_DEP_3) | instskip(SKIP_4) | instid1(VALU_DEP_3)
	v_and_or_b32 v2, 0xffe, v7, v2
	s_wait_alu 0xfffd
	v_cndmask_b32_e64 v4, 0, 1, vcc_lo
	v_sub_nc_u32_e32 v7, 0x3f1, v10
	v_add_nc_u32_e32 v10, 0xfffffc10, v10
	v_and_or_b32 v4, 0xffe, v9, v4
	v_med3_i32 v9, v11, 0, 13
	v_or_b32_e32 v11, 0x1000, v2
	v_med3_i32 v7, v7, 0, 13
	s_delay_alu instid0(VALU_DEP_4) | instskip(NEXT) | instid1(VALU_DEP_3)
	v_or_b32_e32 v12, 0x1000, v4
	v_lshrrev_b32_e32 v13, v9, v11
	s_delay_alu instid0(VALU_DEP_2) | instskip(NEXT) | instid1(VALU_DEP_2)
	v_lshrrev_b32_e32 v14, v7, v12
	v_lshlrev_b32_e32 v9, v9, v13
	s_delay_alu instid0(VALU_DEP_2) | instskip(NEXT) | instid1(VALU_DEP_2)
	v_lshlrev_b32_e32 v7, v7, v14
	v_cmp_ne_u32_e32 vcc_lo, v9, v11
	v_lshl_or_b32 v11, v8, 12, v2
	s_wait_alu 0xfffd
	v_cndmask_b32_e64 v9, 0, 1, vcc_lo
	v_cmp_ne_u32_e32 vcc_lo, v7, v12
	v_lshl_or_b32 v12, v10, 12, v4
	s_delay_alu instid0(VALU_DEP_3) | instskip(SKIP_3) | instid1(VALU_DEP_2)
	v_or_b32_e32 v9, v13, v9
	s_wait_alu 0xfffd
	v_cndmask_b32_e64 v7, 0, 1, vcc_lo
	v_cmp_gt_i32_e32 vcc_lo, 1, v8
	v_or_b32_e32 v7, v14, v7
	s_wait_alu 0xfffd
	v_cndmask_b32_e32 v9, v11, v9, vcc_lo
	v_cmp_gt_i32_e32 vcc_lo, 1, v10
	s_delay_alu instid0(VALU_DEP_2)
	v_and_b32_e32 v11, 7, v9
	s_wait_alu 0xfffd
	v_cndmask_b32_e32 v7, v12, v7, vcc_lo
	v_cmp_ne_u32_e32 vcc_lo, 0, v2
	v_lshrrev_b32_e32 v9, 2, v9
	v_cmp_eq_u32_e64 s0, 3, v11
	s_delay_alu instid0(VALU_DEP_4)
	v_and_b32_e32 v12, 7, v7
	s_wait_alu 0xfffd
	v_cndmask_b32_e64 v2, 0, 1, vcc_lo
	v_cmp_ne_u32_e32 vcc_lo, 0, v4
	v_lshrrev_b32_e32 v7, 2, v7
	v_cmp_lt_i32_e64 s1, 5, v12
	v_cmp_eq_u32_e64 s2, 3, v12
	s_wait_alu 0xfffd
	v_cndmask_b32_e64 v4, 0, 1, vcc_lo
	v_cmp_lt_i32_e32 vcc_lo, 5, v11
	v_lshl_or_b32 v2, v2, 9, 0x7c00
	s_delay_alu instid0(VALU_DEP_3)
	v_lshl_or_b32 v4, v4, 9, 0x7c00
	s_or_b32 vcc_lo, s0, vcc_lo
	s_wait_alu 0xfffe
	v_add_co_ci_u32_e32 v9, vcc_lo, 0, v9, vcc_lo
	s_or_b32 vcc_lo, s2, s1
	s_wait_alu 0xfffe
	v_add_co_ci_u32_e32 v7, vcc_lo, 0, v7, vcc_lo
	v_cmp_gt_i32_e32 vcc_lo, 31, v8
	s_wait_alu 0xfffd
	v_cndmask_b32_e32 v9, 0x7c00, v9, vcc_lo
	v_cmp_gt_i32_e32 vcc_lo, 31, v10
	s_wait_alu 0xfffd
	v_cndmask_b32_e32 v7, 0x7c00, v7, vcc_lo
	v_cmp_eq_u32_e32 vcc_lo, 0x40f, v8
	s_wait_alu 0xfffd
	v_cndmask_b32_e32 v2, v9, v2, vcc_lo
	v_cmp_eq_u32_e32 vcc_lo, 0x40f, v10
	s_delay_alu instid0(VALU_DEP_2)
	v_and_or_b32 v2, 0x8000, v3, v2
	s_wait_alu 0xfffd
	v_cndmask_b32_e32 v4, v7, v4, vcc_lo
	v_add_co_u32 v0, vcc_lo, v0, s4
	s_wait_alu 0xfffd
	v_add_co_ci_u32_e32 v1, vcc_lo, s5, v1, vcc_lo
	s_delay_alu instid0(VALU_DEP_3) | instskip(SKIP_1) | instid1(VALU_DEP_1)
	v_and_or_b32 v3, 0x8000, v5, v4
	v_and_b32_e32 v2, 0xffff, v2
	v_lshl_or_b32 v2, v3, 16, v2
	global_store_b32 v[0:1], v2, off
	global_load_b32 v4, v43, s[8:9] offset:3900
	v_add_nc_u32_e32 v2, 0xe00, v6
	ds_load_2addr_b32 v[2:3], v2 offset0:79 offset1:144
	s_wait_dscnt 0x0
	v_lshrrev_b32_e32 v5, 16, v2
	s_wait_loadcnt 0x0
	v_lshrrev_b32_e32 v6, 16, v4
	s_delay_alu instid0(VALU_DEP_1) | instskip(SKIP_1) | instid1(VALU_DEP_2)
	v_mul_f16_e32 v7, v5, v6
	v_mul_f16_e32 v6, v2, v6
	v_fmac_f16_e32 v7, v2, v4
	s_delay_alu instid0(VALU_DEP_2) | instskip(NEXT) | instid1(VALU_DEP_2)
	v_fma_f16 v2, v4, v5, -v6
	v_cvt_f32_f16_e32 v4, v7
	s_delay_alu instid0(VALU_DEP_2) | instskip(NEXT) | instid1(VALU_DEP_2)
	v_cvt_f32_f16_e32 v2, v2
	v_cvt_f64_f32_e32 v[4:5], v4
	s_delay_alu instid0(VALU_DEP_2) | instskip(NEXT) | instid1(VALU_DEP_2)
	v_cvt_f64_f32_e32 v[6:7], v2
	v_mul_f64_e32 v[4:5], s[10:11], v[4:5]
	s_delay_alu instid0(VALU_DEP_2) | instskip(NEXT) | instid1(VALU_DEP_2)
	v_mul_f64_e32 v[6:7], s[10:11], v[6:7]
	v_and_or_b32 v2, 0x1ff, v5, v4
	s_delay_alu instid0(VALU_DEP_2)
	v_and_or_b32 v6, 0x1ff, v7, v6
	v_lshrrev_b32_e32 v4, 8, v5
	v_bfe_u32 v8, v5, 20, 11
	v_lshrrev_b32_e32 v9, 8, v7
	v_cmp_ne_u32_e32 vcc_lo, 0, v2
	v_bfe_u32 v10, v7, 20, 11
	v_lshrrev_b32_e32 v5, 16, v5
	v_sub_nc_u32_e32 v11, 0x3f1, v8
	v_add_nc_u32_e32 v8, 0xfffffc10, v8
	s_wait_alu 0xfffd
	v_cndmask_b32_e64 v2, 0, 1, vcc_lo
	v_cmp_ne_u32_e32 vcc_lo, 0, v6
	v_lshrrev_b32_e32 v7, 16, v7
	s_delay_alu instid0(VALU_DEP_3) | instskip(SKIP_4) | instid1(VALU_DEP_3)
	v_and_or_b32 v2, 0xffe, v4, v2
	s_wait_alu 0xfffd
	v_cndmask_b32_e64 v6, 0, 1, vcc_lo
	v_sub_nc_u32_e32 v4, 0x3f1, v10
	v_add_nc_u32_e32 v10, 0xfffffc10, v10
	v_and_or_b32 v6, 0xffe, v9, v6
	v_med3_i32 v9, v11, 0, 13
	v_or_b32_e32 v11, 0x1000, v2
	v_med3_i32 v4, v4, 0, 13
	s_delay_alu instid0(VALU_DEP_4) | instskip(NEXT) | instid1(VALU_DEP_3)
	v_or_b32_e32 v12, 0x1000, v6
	v_lshrrev_b32_e32 v13, v9, v11
	s_delay_alu instid0(VALU_DEP_2) | instskip(NEXT) | instid1(VALU_DEP_2)
	v_lshrrev_b32_e32 v14, v4, v12
	v_lshlrev_b32_e32 v9, v9, v13
	s_delay_alu instid0(VALU_DEP_2) | instskip(NEXT) | instid1(VALU_DEP_2)
	v_lshlrev_b32_e32 v4, v4, v14
	v_cmp_ne_u32_e32 vcc_lo, v9, v11
	v_lshl_or_b32 v11, v8, 12, v2
	s_wait_alu 0xfffd
	v_cndmask_b32_e64 v9, 0, 1, vcc_lo
	v_cmp_ne_u32_e32 vcc_lo, v4, v12
	v_lshl_or_b32 v12, v10, 12, v6
	s_delay_alu instid0(VALU_DEP_3) | instskip(SKIP_3) | instid1(VALU_DEP_2)
	v_or_b32_e32 v9, v13, v9
	s_wait_alu 0xfffd
	v_cndmask_b32_e64 v4, 0, 1, vcc_lo
	v_cmp_gt_i32_e32 vcc_lo, 1, v8
	v_or_b32_e32 v4, v14, v4
	s_wait_alu 0xfffd
	v_cndmask_b32_e32 v9, v11, v9, vcc_lo
	v_cmp_gt_i32_e32 vcc_lo, 1, v10
	s_wait_alu 0xfffd
	s_delay_alu instid0(VALU_DEP_2) | instskip(SKIP_2) | instid1(VALU_DEP_3)
	v_dual_cndmask_b32 v4, v12, v4 :: v_dual_and_b32 v11, 7, v9
	v_cmp_ne_u32_e32 vcc_lo, 0, v2
	v_lshrrev_b32_e32 v9, 2, v9
	v_cmp_eq_u32_e64 s0, 3, v11
	s_delay_alu instid0(VALU_DEP_4)
	v_and_b32_e32 v12, 7, v4
	s_wait_alu 0xfffd
	v_cndmask_b32_e64 v2, 0, 1, vcc_lo
	v_cmp_ne_u32_e32 vcc_lo, 0, v6
	v_lshrrev_b32_e32 v4, 2, v4
	v_cmp_lt_i32_e64 s1, 5, v12
	v_cmp_eq_u32_e64 s2, 3, v12
	s_wait_alu 0xfffd
	v_cndmask_b32_e64 v6, 0, 1, vcc_lo
	v_cmp_lt_i32_e32 vcc_lo, 5, v11
	v_lshl_or_b32 v2, v2, 9, 0x7c00
	s_delay_alu instid0(VALU_DEP_3)
	v_lshl_or_b32 v6, v6, 9, 0x7c00
	s_or_b32 vcc_lo, s0, vcc_lo
	s_wait_alu 0xfffe
	v_add_co_ci_u32_e32 v9, vcc_lo, 0, v9, vcc_lo
	s_or_b32 vcc_lo, s2, s1
	s_wait_alu 0xfffe
	v_add_co_ci_u32_e32 v4, vcc_lo, 0, v4, vcc_lo
	v_cmp_gt_i32_e32 vcc_lo, 31, v8
	s_wait_alu 0xfffd
	v_cndmask_b32_e32 v9, 0x7c00, v9, vcc_lo
	v_cmp_gt_i32_e32 vcc_lo, 31, v10
	s_wait_alu 0xfffd
	v_cndmask_b32_e32 v4, 0x7c00, v4, vcc_lo
	v_cmp_eq_u32_e32 vcc_lo, 0x40f, v8
	s_wait_alu 0xfffd
	v_cndmask_b32_e32 v2, v9, v2, vcc_lo
	v_cmp_eq_u32_e32 vcc_lo, 0x40f, v10
	s_delay_alu instid0(VALU_DEP_2)
	v_and_or_b32 v2, 0x8000, v5, v2
	s_wait_alu 0xfffd
	v_cndmask_b32_e32 v4, v4, v6, vcc_lo
	v_add_co_u32 v0, vcc_lo, v0, s4
	s_wait_alu 0xfffd
	v_add_co_ci_u32_e32 v1, vcc_lo, s5, v1, vcc_lo
	s_delay_alu instid0(VALU_DEP_3) | instskip(SKIP_1) | instid1(VALU_DEP_1)
	v_and_or_b32 v4, 0x8000, v7, v4
	v_and_b32_e32 v2, 0xffff, v2
	v_lshl_or_b32 v2, v4, 16, v2
	v_lshrrev_b32_e32 v4, 16, v3
	global_store_b32 v[0:1], v2, off
	global_load_b32 v2, v43, s[8:9] offset:4160
	s_wait_loadcnt 0x0
	v_lshrrev_b32_e32 v5, 16, v2
	s_delay_alu instid0(VALU_DEP_1) | instskip(SKIP_1) | instid1(VALU_DEP_2)
	v_mul_f16_e32 v6, v4, v5
	v_mul_f16_e32 v5, v3, v5
	v_fmac_f16_e32 v6, v3, v2
	s_delay_alu instid0(VALU_DEP_2) | instskip(NEXT) | instid1(VALU_DEP_2)
	v_fma_f16 v2, v2, v4, -v5
	v_cvt_f32_f16_e32 v3, v6
	s_delay_alu instid0(VALU_DEP_2) | instskip(NEXT) | instid1(VALU_DEP_2)
	v_cvt_f32_f16_e32 v4, v2
	v_cvt_f64_f32_e32 v[2:3], v3
	s_delay_alu instid0(VALU_DEP_2) | instskip(NEXT) | instid1(VALU_DEP_2)
	v_cvt_f64_f32_e32 v[4:5], v4
	v_mul_f64_e32 v[2:3], s[10:11], v[2:3]
	s_delay_alu instid0(VALU_DEP_2) | instskip(NEXT) | instid1(VALU_DEP_2)
	v_mul_f64_e32 v[4:5], s[10:11], v[4:5]
	v_and_or_b32 v2, 0x1ff, v3, v2
	s_delay_alu instid0(VALU_DEP_2)
	v_and_or_b32 v4, 0x1ff, v5, v4
	v_lshrrev_b32_e32 v6, 8, v3
	v_bfe_u32 v7, v3, 20, 11
	v_lshrrev_b32_e32 v8, 8, v5
	v_cmp_ne_u32_e32 vcc_lo, 0, v2
	v_bfe_u32 v9, v5, 20, 11
	v_lshrrev_b32_e32 v3, 16, v3
	v_sub_nc_u32_e32 v10, 0x3f1, v7
	v_add_nc_u32_e32 v7, 0xfffffc10, v7
	s_wait_alu 0xfffd
	v_cndmask_b32_e64 v2, 0, 1, vcc_lo
	v_cmp_ne_u32_e32 vcc_lo, 0, v4
	v_lshrrev_b32_e32 v5, 16, v5
	s_delay_alu instid0(VALU_DEP_3) | instskip(SKIP_4) | instid1(VALU_DEP_3)
	v_and_or_b32 v2, 0xffe, v6, v2
	s_wait_alu 0xfffd
	v_cndmask_b32_e64 v4, 0, 1, vcc_lo
	v_sub_nc_u32_e32 v6, 0x3f1, v9
	v_add_nc_u32_e32 v9, 0xfffffc10, v9
	v_and_or_b32 v4, 0xffe, v8, v4
	v_med3_i32 v8, v10, 0, 13
	v_or_b32_e32 v10, 0x1000, v2
	v_med3_i32 v6, v6, 0, 13
	s_delay_alu instid0(VALU_DEP_4) | instskip(NEXT) | instid1(VALU_DEP_3)
	v_or_b32_e32 v11, 0x1000, v4
	v_lshrrev_b32_e32 v12, v8, v10
	s_delay_alu instid0(VALU_DEP_2) | instskip(NEXT) | instid1(VALU_DEP_2)
	v_lshrrev_b32_e32 v13, v6, v11
	v_lshlrev_b32_e32 v8, v8, v12
	s_delay_alu instid0(VALU_DEP_2) | instskip(NEXT) | instid1(VALU_DEP_2)
	v_lshlrev_b32_e32 v6, v6, v13
	v_cmp_ne_u32_e32 vcc_lo, v8, v10
	v_lshl_or_b32 v10, v7, 12, v2
	s_wait_alu 0xfffd
	v_cndmask_b32_e64 v8, 0, 1, vcc_lo
	v_cmp_ne_u32_e32 vcc_lo, v6, v11
	v_lshl_or_b32 v11, v9, 12, v4
	s_delay_alu instid0(VALU_DEP_3) | instskip(SKIP_3) | instid1(VALU_DEP_2)
	v_or_b32_e32 v8, v12, v8
	s_wait_alu 0xfffd
	v_cndmask_b32_e64 v6, 0, 1, vcc_lo
	v_cmp_gt_i32_e32 vcc_lo, 1, v7
	v_or_b32_e32 v6, v13, v6
	s_wait_alu 0xfffd
	v_cndmask_b32_e32 v8, v10, v8, vcc_lo
	v_cmp_gt_i32_e32 vcc_lo, 1, v9
	s_delay_alu instid0(VALU_DEP_2)
	v_and_b32_e32 v10, 7, v8
	s_wait_alu 0xfffd
	v_cndmask_b32_e32 v6, v11, v6, vcc_lo
	v_cmp_ne_u32_e32 vcc_lo, 0, v2
	v_lshrrev_b32_e32 v8, 2, v8
	v_cmp_eq_u32_e64 s0, 3, v10
	s_delay_alu instid0(VALU_DEP_4)
	v_and_b32_e32 v11, 7, v6
	s_wait_alu 0xfffd
	v_cndmask_b32_e64 v2, 0, 1, vcc_lo
	v_cmp_ne_u32_e32 vcc_lo, 0, v4
	v_lshrrev_b32_e32 v6, 2, v6
	v_cmp_lt_i32_e64 s1, 5, v11
	v_cmp_eq_u32_e64 s2, 3, v11
	s_wait_alu 0xfffd
	v_cndmask_b32_e64 v4, 0, 1, vcc_lo
	v_cmp_lt_i32_e32 vcc_lo, 5, v10
	v_lshl_or_b32 v2, v2, 9, 0x7c00
	s_delay_alu instid0(VALU_DEP_3)
	v_lshl_or_b32 v4, v4, 9, 0x7c00
	s_or_b32 vcc_lo, s0, vcc_lo
	s_wait_alu 0xfffe
	v_add_co_ci_u32_e32 v8, vcc_lo, 0, v8, vcc_lo
	s_or_b32 vcc_lo, s2, s1
	s_wait_alu 0xfffe
	v_add_co_ci_u32_e32 v6, vcc_lo, 0, v6, vcc_lo
	v_cmp_gt_i32_e32 vcc_lo, 31, v7
	s_wait_alu 0xfffd
	v_cndmask_b32_e32 v8, 0x7c00, v8, vcc_lo
	v_cmp_gt_i32_e32 vcc_lo, 31, v9
	s_wait_alu 0xfffd
	v_cndmask_b32_e32 v6, 0x7c00, v6, vcc_lo
	v_cmp_eq_u32_e32 vcc_lo, 0x40f, v7
	s_wait_alu 0xfffd
	v_cndmask_b32_e32 v2, v8, v2, vcc_lo
	v_cmp_eq_u32_e32 vcc_lo, 0x40f, v9
	s_delay_alu instid0(VALU_DEP_2)
	v_and_or_b32 v2, 0x8000, v3, v2
	s_wait_alu 0xfffd
	v_cndmask_b32_e32 v4, v6, v4, vcc_lo
	v_add_co_u32 v0, vcc_lo, v0, s4
	s_wait_alu 0xfffd
	v_add_co_ci_u32_e32 v1, vcc_lo, s5, v1, vcc_lo
	s_delay_alu instid0(VALU_DEP_3) | instskip(SKIP_1) | instid1(VALU_DEP_1)
	v_and_or_b32 v3, 0x8000, v5, v4
	v_and_b32_e32 v2, 0xffff, v2
	v_lshl_or_b32 v2, v3, 16, v2
	global_store_b32 v[0:1], v2, off
.LBB0_23:
	s_nop 0
	s_sendmsg sendmsg(MSG_DEALLOC_VGPRS)
	s_endpgm
	.section	.rodata,"a",@progbits
	.p2align	6, 0x0
	.amdhsa_kernel bluestein_single_fwd_len1105_dim1_half_op_CI_CI
		.amdhsa_group_segment_fixed_size 13260
		.amdhsa_private_segment_fixed_size 0
		.amdhsa_kernarg_size 104
		.amdhsa_user_sgpr_count 2
		.amdhsa_user_sgpr_dispatch_ptr 0
		.amdhsa_user_sgpr_queue_ptr 0
		.amdhsa_user_sgpr_kernarg_segment_ptr 1
		.amdhsa_user_sgpr_dispatch_id 0
		.amdhsa_user_sgpr_private_segment_size 0
		.amdhsa_wavefront_size32 1
		.amdhsa_uses_dynamic_stack 0
		.amdhsa_enable_private_segment 0
		.amdhsa_system_sgpr_workgroup_id_x 1
		.amdhsa_system_sgpr_workgroup_id_y 0
		.amdhsa_system_sgpr_workgroup_id_z 0
		.amdhsa_system_sgpr_workgroup_info 0
		.amdhsa_system_vgpr_workitem_id 0
		.amdhsa_next_free_vgpr 240
		.amdhsa_next_free_sgpr 14
		.amdhsa_reserve_vcc 1
		.amdhsa_float_round_mode_32 0
		.amdhsa_float_round_mode_16_64 0
		.amdhsa_float_denorm_mode_32 3
		.amdhsa_float_denorm_mode_16_64 3
		.amdhsa_fp16_overflow 0
		.amdhsa_workgroup_processor_mode 1
		.amdhsa_memory_ordered 1
		.amdhsa_forward_progress 0
		.amdhsa_round_robin_scheduling 0
		.amdhsa_exception_fp_ieee_invalid_op 0
		.amdhsa_exception_fp_denorm_src 0
		.amdhsa_exception_fp_ieee_div_zero 0
		.amdhsa_exception_fp_ieee_overflow 0
		.amdhsa_exception_fp_ieee_underflow 0
		.amdhsa_exception_fp_ieee_inexact 0
		.amdhsa_exception_int_div_zero 0
	.end_amdhsa_kernel
	.text
.Lfunc_end0:
	.size	bluestein_single_fwd_len1105_dim1_half_op_CI_CI, .Lfunc_end0-bluestein_single_fwd_len1105_dim1_half_op_CI_CI
                                        ; -- End function
	.section	.AMDGPU.csdata,"",@progbits
; Kernel info:
; codeLenInByte = 38916
; NumSgprs: 16
; NumVgprs: 240
; ScratchSize: 0
; MemoryBound: 0
; FloatMode: 240
; IeeeMode: 1
; LDSByteSize: 13260 bytes/workgroup (compile time only)
; SGPRBlocks: 1
; VGPRBlocks: 29
; NumSGPRsForWavesPerEU: 16
; NumVGPRsForWavesPerEU: 240
; Occupancy: 6
; WaveLimiterHint : 1
; COMPUTE_PGM_RSRC2:SCRATCH_EN: 0
; COMPUTE_PGM_RSRC2:USER_SGPR: 2
; COMPUTE_PGM_RSRC2:TRAP_HANDLER: 0
; COMPUTE_PGM_RSRC2:TGID_X_EN: 1
; COMPUTE_PGM_RSRC2:TGID_Y_EN: 0
; COMPUTE_PGM_RSRC2:TGID_Z_EN: 0
; COMPUTE_PGM_RSRC2:TIDIG_COMP_CNT: 0
	.text
	.p2alignl 7, 3214868480
	.fill 96, 4, 3214868480
	.type	__hip_cuid_92a38d735716b757,@object ; @__hip_cuid_92a38d735716b757
	.section	.bss,"aw",@nobits
	.globl	__hip_cuid_92a38d735716b757
__hip_cuid_92a38d735716b757:
	.byte	0                               ; 0x0
	.size	__hip_cuid_92a38d735716b757, 1

	.ident	"AMD clang version 19.0.0git (https://github.com/RadeonOpenCompute/llvm-project roc-6.4.0 25133 c7fe45cf4b819c5991fe208aaa96edf142730f1d)"
	.section	".note.GNU-stack","",@progbits
	.addrsig
	.addrsig_sym __hip_cuid_92a38d735716b757
	.amdgpu_metadata
---
amdhsa.kernels:
  - .args:
      - .actual_access:  read_only
        .address_space:  global
        .offset:         0
        .size:           8
        .value_kind:     global_buffer
      - .actual_access:  read_only
        .address_space:  global
        .offset:         8
        .size:           8
        .value_kind:     global_buffer
      - .actual_access:  read_only
        .address_space:  global
        .offset:         16
        .size:           8
        .value_kind:     global_buffer
      - .actual_access:  read_only
        .address_space:  global
        .offset:         24
        .size:           8
        .value_kind:     global_buffer
      - .actual_access:  read_only
        .address_space:  global
        .offset:         32
        .size:           8
        .value_kind:     global_buffer
      - .offset:         40
        .size:           8
        .value_kind:     by_value
      - .address_space:  global
        .offset:         48
        .size:           8
        .value_kind:     global_buffer
      - .address_space:  global
        .offset:         56
        .size:           8
        .value_kind:     global_buffer
      - .address_space:  global
        .offset:         64
        .size:           8
        .value_kind:     global_buffer
      - .address_space:  global
        .offset:         72
        .size:           8
        .value_kind:     global_buffer
      - .offset:         80
        .size:           4
        .value_kind:     by_value
      - .address_space:  global
        .offset:         88
        .size:           8
        .value_kind:     global_buffer
      - .address_space:  global
        .offset:         96
        .size:           8
        .value_kind:     global_buffer
    .group_segment_fixed_size: 13260
    .kernarg_segment_align: 8
    .kernarg_segment_size: 104
    .language:       OpenCL C
    .language_version:
      - 2
      - 0
    .max_flat_workgroup_size: 255
    .name:           bluestein_single_fwd_len1105_dim1_half_op_CI_CI
    .private_segment_fixed_size: 0
    .sgpr_count:     16
    .sgpr_spill_count: 0
    .symbol:         bluestein_single_fwd_len1105_dim1_half_op_CI_CI.kd
    .uniform_work_group_size: 1
    .uses_dynamic_stack: false
    .vgpr_count:     240
    .vgpr_spill_count: 0
    .wavefront_size: 32
    .workgroup_processor_mode: 1
amdhsa.target:   amdgcn-amd-amdhsa--gfx1201
amdhsa.version:
  - 1
  - 2
...

	.end_amdgpu_metadata
